;; amdgpu-corpus repo=ROCm/rocFFT kind=compiled arch=gfx1201 opt=O3
	.text
	.amdgcn_target "amdgcn-amd-amdhsa--gfx1201"
	.amdhsa_code_object_version 6
	.protected	fft_rtc_back_len1496_factors_17_8_11_wgs_187_tpt_187_halfLds_dp_op_CI_CI_unitstride_sbrr_dirReg ; -- Begin function fft_rtc_back_len1496_factors_17_8_11_wgs_187_tpt_187_halfLds_dp_op_CI_CI_unitstride_sbrr_dirReg
	.globl	fft_rtc_back_len1496_factors_17_8_11_wgs_187_tpt_187_halfLds_dp_op_CI_CI_unitstride_sbrr_dirReg
	.p2align	8
	.type	fft_rtc_back_len1496_factors_17_8_11_wgs_187_tpt_187_halfLds_dp_op_CI_CI_unitstride_sbrr_dirReg,@function
fft_rtc_back_len1496_factors_17_8_11_wgs_187_tpt_187_halfLds_dp_op_CI_CI_unitstride_sbrr_dirReg: ; @fft_rtc_back_len1496_factors_17_8_11_wgs_187_tpt_187_halfLds_dp_op_CI_CI_unitstride_sbrr_dirReg
; %bb.0:
	s_clause 0x2
	s_load_b128 s[8:11], s[0:1], 0x0
	s_load_b128 s[4:7], s[0:1], 0x58
	;; [unrolled: 1-line block ×3, first 2 shown]
	v_mul_u32_u24_e32 v1, 0x15f, v0
	v_mov_b32_e32 v3, 0
	s_delay_alu instid0(VALU_DEP_2) | instskip(NEXT) | instid1(VALU_DEP_1)
	v_lshrrev_b32_e32 v1, 16, v1
	v_add_nc_u32_e32 v5, ttmp9, v1
	v_mov_b32_e32 v1, 0
	v_mov_b32_e32 v2, 0
	;; [unrolled: 1-line block ×3, first 2 shown]
	s_wait_kmcnt 0x0
	v_cmp_lt_u64_e64 s2, s[10:11], 2
	s_delay_alu instid0(VALU_DEP_1)
	s_and_b32 vcc_lo, exec_lo, s2
	s_cbranch_vccnz .LBB0_8
; %bb.1:
	s_load_b64 s[2:3], s[0:1], 0x10
	v_mov_b32_e32 v1, 0
	v_mov_b32_e32 v2, 0
	s_add_nc_u64 s[16:17], s[14:15], 8
	s_add_nc_u64 s[18:19], s[12:13], 8
	s_mov_b64 s[20:21], 1
	s_delay_alu instid0(VALU_DEP_1)
	v_dual_mov_b32 v93, v2 :: v_dual_mov_b32 v92, v1
	s_wait_kmcnt 0x0
	s_add_nc_u64 s[22:23], s[2:3], 8
	s_mov_b32 s3, 0
.LBB0_2:                                ; =>This Inner Loop Header: Depth=1
	s_load_b64 s[24:25], s[22:23], 0x0
                                        ; implicit-def: $vgpr94_vgpr95
	s_mov_b32 s2, exec_lo
	s_wait_kmcnt 0x0
	v_or_b32_e32 v4, s25, v6
	s_delay_alu instid0(VALU_DEP_1)
	v_cmpx_ne_u64_e32 0, v[3:4]
	s_wait_alu 0xfffe
	s_xor_b32 s26, exec_lo, s2
	s_cbranch_execz .LBB0_4
; %bb.3:                                ;   in Loop: Header=BB0_2 Depth=1
	s_cvt_f32_u32 s2, s24
	s_cvt_f32_u32 s27, s25
	s_sub_nc_u64 s[30:31], 0, s[24:25]
	s_wait_alu 0xfffe
	s_delay_alu instid0(SALU_CYCLE_1) | instskip(SKIP_1) | instid1(SALU_CYCLE_2)
	s_fmamk_f32 s2, s27, 0x4f800000, s2
	s_wait_alu 0xfffe
	v_s_rcp_f32 s2, s2
	s_delay_alu instid0(TRANS32_DEP_1) | instskip(SKIP_1) | instid1(SALU_CYCLE_2)
	s_mul_f32 s2, s2, 0x5f7ffffc
	s_wait_alu 0xfffe
	s_mul_f32 s27, s2, 0x2f800000
	s_wait_alu 0xfffe
	s_delay_alu instid0(SALU_CYCLE_2) | instskip(SKIP_1) | instid1(SALU_CYCLE_2)
	s_trunc_f32 s27, s27
	s_wait_alu 0xfffe
	s_fmamk_f32 s2, s27, 0xcf800000, s2
	s_cvt_u32_f32 s29, s27
	s_wait_alu 0xfffe
	s_delay_alu instid0(SALU_CYCLE_1) | instskip(SKIP_1) | instid1(SALU_CYCLE_2)
	s_cvt_u32_f32 s28, s2
	s_wait_alu 0xfffe
	s_mul_u64 s[34:35], s[30:31], s[28:29]
	s_wait_alu 0xfffe
	s_mul_hi_u32 s37, s28, s35
	s_mul_i32 s36, s28, s35
	s_mul_hi_u32 s2, s28, s34
	s_mul_i32 s33, s29, s34
	s_wait_alu 0xfffe
	s_add_nc_u64 s[36:37], s[2:3], s[36:37]
	s_mul_hi_u32 s27, s29, s34
	s_mul_hi_u32 s38, s29, s35
	s_add_co_u32 s2, s36, s33
	s_wait_alu 0xfffe
	s_add_co_ci_u32 s2, s37, s27
	s_mul_i32 s34, s29, s35
	s_add_co_ci_u32 s35, s38, 0
	s_wait_alu 0xfffe
	s_add_nc_u64 s[34:35], s[2:3], s[34:35]
	s_wait_alu 0xfffe
	v_add_co_u32 v4, s2, s28, s34
	s_delay_alu instid0(VALU_DEP_1) | instskip(SKIP_1) | instid1(VALU_DEP_1)
	s_cmp_lg_u32 s2, 0
	s_add_co_ci_u32 s29, s29, s35
	v_readfirstlane_b32 s28, v4
	s_wait_alu 0xfffe
	s_delay_alu instid0(VALU_DEP_1)
	s_mul_u64 s[30:31], s[30:31], s[28:29]
	s_wait_alu 0xfffe
	s_mul_hi_u32 s35, s28, s31
	s_mul_i32 s34, s28, s31
	s_mul_hi_u32 s2, s28, s30
	s_mul_i32 s33, s29, s30
	s_wait_alu 0xfffe
	s_add_nc_u64 s[34:35], s[2:3], s[34:35]
	s_mul_hi_u32 s27, s29, s30
	s_mul_hi_u32 s28, s29, s31
	s_wait_alu 0xfffe
	s_add_co_u32 s2, s34, s33
	s_add_co_ci_u32 s2, s35, s27
	s_mul_i32 s30, s29, s31
	s_add_co_ci_u32 s31, s28, 0
	s_wait_alu 0xfffe
	s_add_nc_u64 s[30:31], s[2:3], s[30:31]
	s_wait_alu 0xfffe
	v_add_co_u32 v4, s2, v4, s30
	s_delay_alu instid0(VALU_DEP_1) | instskip(SKIP_1) | instid1(VALU_DEP_1)
	s_cmp_lg_u32 s2, 0
	s_add_co_ci_u32 s2, s29, s31
	v_mul_hi_u32 v13, v5, v4
	s_wait_alu 0xfffe
	v_mad_co_u64_u32 v[7:8], null, v5, s2, 0
	v_mad_co_u64_u32 v[9:10], null, v6, v4, 0
	;; [unrolled: 1-line block ×3, first 2 shown]
	s_delay_alu instid0(VALU_DEP_3) | instskip(SKIP_1) | instid1(VALU_DEP_4)
	v_add_co_u32 v4, vcc_lo, v13, v7
	s_wait_alu 0xfffd
	v_add_co_ci_u32_e32 v7, vcc_lo, 0, v8, vcc_lo
	s_delay_alu instid0(VALU_DEP_2) | instskip(SKIP_1) | instid1(VALU_DEP_2)
	v_add_co_u32 v4, vcc_lo, v4, v9
	s_wait_alu 0xfffd
	v_add_co_ci_u32_e32 v4, vcc_lo, v7, v10, vcc_lo
	s_wait_alu 0xfffd
	v_add_co_ci_u32_e32 v7, vcc_lo, 0, v12, vcc_lo
	s_delay_alu instid0(VALU_DEP_2) | instskip(SKIP_1) | instid1(VALU_DEP_2)
	v_add_co_u32 v4, vcc_lo, v4, v11
	s_wait_alu 0xfffd
	v_add_co_ci_u32_e32 v9, vcc_lo, 0, v7, vcc_lo
	s_delay_alu instid0(VALU_DEP_2) | instskip(SKIP_1) | instid1(VALU_DEP_3)
	v_mul_lo_u32 v10, s25, v4
	v_mad_co_u64_u32 v[7:8], null, s24, v4, 0
	v_mul_lo_u32 v11, s24, v9
	s_delay_alu instid0(VALU_DEP_2) | instskip(NEXT) | instid1(VALU_DEP_2)
	v_sub_co_u32 v7, vcc_lo, v5, v7
	v_add3_u32 v8, v8, v11, v10
	s_delay_alu instid0(VALU_DEP_1) | instskip(SKIP_1) | instid1(VALU_DEP_1)
	v_sub_nc_u32_e32 v10, v6, v8
	s_wait_alu 0xfffd
	v_subrev_co_ci_u32_e64 v10, s2, s25, v10, vcc_lo
	v_add_co_u32 v11, s2, v4, 2
	s_wait_alu 0xf1ff
	v_add_co_ci_u32_e64 v12, s2, 0, v9, s2
	v_sub_co_u32 v13, s2, v7, s24
	v_sub_co_ci_u32_e32 v8, vcc_lo, v6, v8, vcc_lo
	s_wait_alu 0xf1ff
	v_subrev_co_ci_u32_e64 v10, s2, 0, v10, s2
	s_delay_alu instid0(VALU_DEP_3) | instskip(NEXT) | instid1(VALU_DEP_3)
	v_cmp_le_u32_e32 vcc_lo, s24, v13
	v_cmp_eq_u32_e64 s2, s25, v8
	s_wait_alu 0xfffd
	v_cndmask_b32_e64 v13, 0, -1, vcc_lo
	v_cmp_le_u32_e32 vcc_lo, s25, v10
	s_wait_alu 0xfffd
	v_cndmask_b32_e64 v14, 0, -1, vcc_lo
	v_cmp_le_u32_e32 vcc_lo, s24, v7
	;; [unrolled: 3-line block ×3, first 2 shown]
	s_wait_alu 0xfffd
	v_cndmask_b32_e64 v15, 0, -1, vcc_lo
	v_cmp_eq_u32_e32 vcc_lo, s25, v10
	s_wait_alu 0xf1ff
	s_delay_alu instid0(VALU_DEP_2)
	v_cndmask_b32_e64 v7, v15, v7, s2
	s_wait_alu 0xfffd
	v_cndmask_b32_e32 v10, v14, v13, vcc_lo
	v_add_co_u32 v13, vcc_lo, v4, 1
	s_wait_alu 0xfffd
	v_add_co_ci_u32_e32 v14, vcc_lo, 0, v9, vcc_lo
	s_delay_alu instid0(VALU_DEP_3) | instskip(SKIP_1) | instid1(VALU_DEP_2)
	v_cmp_ne_u32_e32 vcc_lo, 0, v10
	s_wait_alu 0xfffd
	v_cndmask_b32_e32 v8, v14, v12, vcc_lo
	v_cndmask_b32_e32 v10, v13, v11, vcc_lo
	v_cmp_ne_u32_e32 vcc_lo, 0, v7
	s_wait_alu 0xfffd
	s_delay_alu instid0(VALU_DEP_2)
	v_dual_cndmask_b32 v95, v9, v8 :: v_dual_cndmask_b32 v94, v4, v10
.LBB0_4:                                ;   in Loop: Header=BB0_2 Depth=1
	s_wait_alu 0xfffe
	s_and_not1_saveexec_b32 s2, s26
	s_cbranch_execz .LBB0_6
; %bb.5:                                ;   in Loop: Header=BB0_2 Depth=1
	v_cvt_f32_u32_e32 v4, s24
	s_sub_co_i32 s26, 0, s24
	v_mov_b32_e32 v95, v3
	s_delay_alu instid0(VALU_DEP_2) | instskip(NEXT) | instid1(TRANS32_DEP_1)
	v_rcp_iflag_f32_e32 v4, v4
	v_mul_f32_e32 v4, 0x4f7ffffe, v4
	s_delay_alu instid0(VALU_DEP_1) | instskip(SKIP_1) | instid1(VALU_DEP_1)
	v_cvt_u32_f32_e32 v4, v4
	s_wait_alu 0xfffe
	v_mul_lo_u32 v7, s26, v4
	s_delay_alu instid0(VALU_DEP_1) | instskip(NEXT) | instid1(VALU_DEP_1)
	v_mul_hi_u32 v7, v4, v7
	v_add_nc_u32_e32 v4, v4, v7
	s_delay_alu instid0(VALU_DEP_1) | instskip(NEXT) | instid1(VALU_DEP_1)
	v_mul_hi_u32 v4, v5, v4
	v_mul_lo_u32 v7, v4, s24
	v_add_nc_u32_e32 v8, 1, v4
	s_delay_alu instid0(VALU_DEP_2) | instskip(NEXT) | instid1(VALU_DEP_1)
	v_sub_nc_u32_e32 v7, v5, v7
	v_subrev_nc_u32_e32 v9, s24, v7
	v_cmp_le_u32_e32 vcc_lo, s24, v7
	s_wait_alu 0xfffd
	s_delay_alu instid0(VALU_DEP_2) | instskip(NEXT) | instid1(VALU_DEP_1)
	v_dual_cndmask_b32 v7, v7, v9 :: v_dual_cndmask_b32 v4, v4, v8
	v_cmp_le_u32_e32 vcc_lo, s24, v7
	s_delay_alu instid0(VALU_DEP_2) | instskip(SKIP_1) | instid1(VALU_DEP_1)
	v_add_nc_u32_e32 v8, 1, v4
	s_wait_alu 0xfffd
	v_cndmask_b32_e32 v94, v4, v8, vcc_lo
.LBB0_6:                                ;   in Loop: Header=BB0_2 Depth=1
	s_wait_alu 0xfffe
	s_or_b32 exec_lo, exec_lo, s2
	v_mul_lo_u32 v4, v95, s24
	s_delay_alu instid0(VALU_DEP_2)
	v_mul_lo_u32 v9, v94, s25
	s_load_b64 s[26:27], s[18:19], 0x0
	v_mad_co_u64_u32 v[7:8], null, v94, s24, 0
	s_load_b64 s[24:25], s[16:17], 0x0
	s_add_nc_u64 s[20:21], s[20:21], 1
	s_add_nc_u64 s[16:17], s[16:17], 8
	s_wait_alu 0xfffe
	v_cmp_ge_u64_e64 s2, s[20:21], s[10:11]
	s_add_nc_u64 s[18:19], s[18:19], 8
	s_add_nc_u64 s[22:23], s[22:23], 8
	v_add3_u32 v4, v8, v9, v4
	v_sub_co_u32 v5, vcc_lo, v5, v7
	s_wait_alu 0xfffd
	s_delay_alu instid0(VALU_DEP_2) | instskip(SKIP_2) | instid1(VALU_DEP_1)
	v_sub_co_ci_u32_e32 v4, vcc_lo, v6, v4, vcc_lo
	s_and_b32 vcc_lo, exec_lo, s2
	s_wait_kmcnt 0x0
	v_mul_lo_u32 v6, s26, v4
	v_mul_lo_u32 v7, s27, v5
	v_mad_co_u64_u32 v[1:2], null, s26, v5, v[1:2]
	v_mul_lo_u32 v4, s24, v4
	v_mul_lo_u32 v8, s25, v5
	v_mad_co_u64_u32 v[92:93], null, s24, v5, v[92:93]
	s_delay_alu instid0(VALU_DEP_4) | instskip(NEXT) | instid1(VALU_DEP_2)
	v_add3_u32 v2, v7, v2, v6
	v_add3_u32 v93, v8, v93, v4
	s_wait_alu 0xfffe
	s_cbranch_vccnz .LBB0_9
; %bb.7:                                ;   in Loop: Header=BB0_2 Depth=1
	v_dual_mov_b32 v5, v94 :: v_dual_mov_b32 v6, v95
	s_branch .LBB0_2
.LBB0_8:
	v_dual_mov_b32 v93, v2 :: v_dual_mov_b32 v92, v1
	v_dual_mov_b32 v95, v6 :: v_dual_mov_b32 v94, v5
.LBB0_9:
	s_load_b64 s[0:1], s[0:1], 0x28
	v_mul_hi_u32 v3, 0x15e75bc, v0
	s_lshl_b64 s[2:3], s[10:11], 3
                                        ; implicit-def: $vgpr50_vgpr51
                                        ; implicit-def: $vgpr54_vgpr55
                                        ; implicit-def: $vgpr58_vgpr59
                                        ; implicit-def: $vgpr66_vgpr67
                                        ; implicit-def: $vgpr6_vgpr7
                                        ; implicit-def: $vgpr10_vgpr11
                                        ; implicit-def: $vgpr14_vgpr15
                                        ; implicit-def: $vgpr18_vgpr19
                                        ; implicit-def: $vgpr22_vgpr23
                                        ; implicit-def: $vgpr26_vgpr27
                                        ; implicit-def: $vgpr34_vgpr35
                                        ; implicit-def: $vgpr38_vgpr39
                                        ; implicit-def: $vgpr42_vgpr43
                                        ; implicit-def: $vgpr46_vgpr47
                                        ; implicit-def: $vgpr70_vgpr71
                                        ; implicit-def: $vgpr62_vgpr63
                                        ; implicit-def: $vgpr30_vgpr31
	s_delay_alu instid0(VALU_DEP_1) | instskip(NEXT) | instid1(VALU_DEP_1)
	v_mul_u32_u24_e32 v3, 0xbb, v3
	v_sub_nc_u32_e32 v96, v0, v3
	s_wait_kmcnt 0x0
	v_cmp_gt_u64_e32 vcc_lo, s[0:1], v[94:95]
	s_delay_alu instid0(VALU_DEP_2) | instskip(NEXT) | instid1(VALU_DEP_1)
	v_cmp_gt_u32_e64 s0, 0x58, v96
	s_and_b32 s1, vcc_lo, s0
	s_wait_alu 0xfffe
	s_and_saveexec_b32 s10, s1
	s_cbranch_execz .LBB0_11
; %bb.10:
	s_add_nc_u64 s[12:13], s[12:13], s[2:3]
	v_mov_b32_e32 v97, 0
	s_load_b64 s[12:13], s[12:13], 0x0
	s_wait_kmcnt 0x0
	v_mul_lo_u32 v0, s13, v94
	v_mul_lo_u32 v5, s12, v95
	v_mad_co_u64_u32 v[3:4], null, s12, v94, 0
	s_delay_alu instid0(VALU_DEP_1) | instskip(SKIP_1) | instid1(VALU_DEP_2)
	v_add3_u32 v4, v4, v5, v0
	v_lshlrev_b64_e32 v[0:1], 4, v[1:2]
	v_lshlrev_b64_e32 v[3:4], 4, v[3:4]
	s_delay_alu instid0(VALU_DEP_1) | instskip(SKIP_1) | instid1(VALU_DEP_2)
	v_add_co_u32 v5, s1, s4, v3
	s_wait_alu 0xf1ff
	v_add_co_ci_u32_e64 v4, s1, s5, v4, s1
	v_lshlrev_b64_e32 v[2:3], 4, v[96:97]
	s_delay_alu instid0(VALU_DEP_3) | instskip(SKIP_1) | instid1(VALU_DEP_3)
	v_add_co_u32 v0, s1, v5, v0
	s_wait_alu 0xf1ff
	v_add_co_ci_u32_e64 v1, s1, v4, v1, s1
	s_delay_alu instid0(VALU_DEP_2) | instskip(SKIP_1) | instid1(VALU_DEP_2)
	v_add_co_u32 v0, s1, v0, v2
	s_wait_alu 0xf1ff
	v_add_co_ci_u32_e64 v1, s1, v1, v3, s1
	s_clause 0x10
	global_load_b128 v[28:31], v[0:1], off
	global_load_b128 v[48:51], v[0:1], off offset:1408
	global_load_b128 v[60:63], v[0:1], off offset:2816
	;; [unrolled: 1-line block ×16, first 2 shown]
.LBB0_11:
	s_wait_alu 0xfffe
	s_or_b32 exec_lo, exec_lo, s10
	s_wait_loadcnt 0x0
	v_add_f64_e64 v[72:73], v[50:51], -v[6:7]
	s_mov_b32 s20, 0xacd6c6b4
	s_mov_b32 s26, 0x4363dd80
	;; [unrolled: 1-line block ×4, first 2 shown]
	v_add_f64_e32 v[76:77], v[48:49], v[4:5]
	v_add_f64_e64 v[74:75], v[62:63], -v[10:11]
	s_mov_b32 s12, 0x7faef3
	s_mov_b32 s46, 0x5d8e7cdc
	;; [unrolled: 1-line block ×8, first 2 shown]
	v_add_f64_e32 v[125:126], v[8:9], v[60:61]
	v_add_f64_e64 v[107:108], v[54:55], -v[14:15]
	s_mov_b32 s16, 0x370991
	s_mov_b32 s28, 0x2b2883cd
	;; [unrolled: 1-line block ×6, first 2 shown]
	v_add_f64_e32 v[121:122], v[52:53], v[12:13]
	v_add_f64_e64 v[101:102], v[58:59], -v[18:19]
	s_mov_b32 s34, 0x2a9d6da3
	s_mov_b32 s42, 0x6c9a05f6
	;; [unrolled: 1-line block ×6, first 2 shown]
	v_add_f64_e32 v[117:118], v[56:57], v[16:17]
	v_add_f64_e64 v[88:89], v[70:71], -v[22:23]
	s_mov_b32 s10, 0x75d4884
	s_mov_b32 s18, 0x6ed5f1bb
	;; [unrolled: 1-line block ×5, first 2 shown]
	s_wait_alu 0xfffe
	v_mul_f64_e32 v[0:1], s[20:21], v[72:73]
	v_mul_f64_e32 v[123:124], s[26:27], v[72:73]
	s_mov_b32 s45, 0xbfd71e95
	s_mov_b32 s40, s42
	s_mov_b32 s44, s46
	v_add_f64_e32 v[113:114], v[20:21], v[68:69]
	v_mul_f64_e32 v[2:3], s[46:47], v[74:75]
	v_mul_f64_e32 v[119:120], s[30:31], v[74:75]
	v_add_f64_e32 v[109:110], v[64:65], v[24:25]
	s_mov_b32 s36, 0x923c349f
	s_mov_b32 s37, 0xbfeec746
	;; [unrolled: 1-line block ×6, first 2 shown]
	v_mul_f64_e32 v[82:83], s[26:27], v[107:108]
	v_mul_f64_e32 v[115:116], s[48:49], v[107:108]
	;; [unrolled: 1-line block ×5, first 2 shown]
	v_fma_f64 v[78:79], v[76:77], s[12:13], v[0:1]
	v_fma_f64 v[0:1], v[76:77], s[12:13], -v[0:1]
	v_fma_f64 v[80:81], v[76:77], s[24:25], -v[123:124]
	v_fma_f64 v[84:85], v[125:126], s[16:17], v[2:3]
	v_fma_f64 v[2:3], v[125:126], s[16:17], -v[2:3]
	v_fma_f64 v[86:87], v[125:126], s[28:29], -v[119:120]
	;; [unrolled: 3-line block ×4, first 2 shown]
	v_fma_f64 v[131:132], v[113:114], s[16:17], -v[105:106]
	v_add_f64_e32 v[78:79], v[78:79], v[28:29]
	v_add_f64_e32 v[0:1], v[0:1], v[28:29]
	;; [unrolled: 1-line block ×3, first 2 shown]
	s_delay_alu instid0(VALU_DEP_3) | instskip(NEXT) | instid1(VALU_DEP_3)
	v_add_f64_e32 v[78:79], v[84:85], v[78:79]
	v_add_f64_e32 v[0:1], v[2:3], v[0:1]
	s_delay_alu instid0(VALU_DEP_3)
	v_add_f64_e32 v[2:3], v[86:87], v[80:81]
	v_add_f64_e64 v[84:85], v[66:67], -v[26:27]
	v_mul_f64_e32 v[86:87], s[40:41], v[88:89]
	v_add_f64_e64 v[80:81], v[46:47], -v[34:35]
	v_add_f64_e32 v[78:79], v[97:98], v[78:79]
	v_add_f64_e32 v[0:1], v[82:83], v[0:1]
	;; [unrolled: 1-line block ×3, first 2 shown]
	v_mul_f64_e32 v[82:83], s[30:31], v[84:85]
	v_mul_f64_e32 v[99:100], s[20:21], v[84:85]
	v_fma_f64 v[97:98], v[113:114], s[18:19], v[86:87]
	v_fma_f64 v[129:130], v[113:114], s[18:19], -v[86:87]
	v_mul_f64_e32 v[86:87], s[34:35], v[80:81]
	v_add_f64_e32 v[133:134], v[103:104], v[78:79]
	v_add_f64_e32 v[0:1], v[90:91], v[0:1]
	;; [unrolled: 1-line block ×4, first 2 shown]
	v_add_f64_e64 v[78:79], v[42:43], -v[38:39]
	v_mul_f64_e32 v[127:128], s[36:37], v[80:81]
	v_fma_f64 v[135:136], v[109:110], s[28:29], v[82:83]
	v_fma_f64 v[137:138], v[109:110], s[28:29], -v[82:83]
	v_fma_f64 v[139:140], v[109:110], s[12:13], -v[99:100]
	v_add_f64_e32 v[90:91], v[36:37], v[40:41]
	v_add_f64_e32 v[97:98], v[97:98], v[133:134]
	;; [unrolled: 1-line block ×4, first 2 shown]
	v_fma_f64 v[133:134], v[103:104], s[10:11], -v[86:87]
	v_mul_f64_e32 v[129:130], s[38:39], v[78:79]
	v_mul_f64_e32 v[82:83], s[36:37], v[78:79]
	s_wait_alu 0xfffe
	v_fma_f64 v[131:132], v[103:104], s[4:5], v[127:128]
	v_fma_f64 v[127:128], v[103:104], s[4:5], -v[127:128]
	v_add_f64_e32 v[97:98], v[135:136], v[97:98]
	v_add_f64_e32 v[0:1], v[137:138], v[0:1]
	;; [unrolled: 1-line block ×3, first 2 shown]
	v_fma_f64 v[135:136], v[90:91], s[22:23], v[129:130]
	v_fma_f64 v[129:130], v[90:91], s[22:23], -v[129:130]
	v_fma_f64 v[137:138], v[90:91], s[4:5], -v[82:83]
	v_add_f64_e32 v[97:98], v[131:132], v[97:98]
	v_add_f64_e32 v[127:128], v[127:128], v[0:1]
	v_add_f64_e32 v[131:132], v[133:134], v[2:3]
	s_delay_alu instid0(VALU_DEP_3) | instskip(NEXT) | instid1(VALU_DEP_3)
	v_add_f64_e32 v[0:1], v[135:136], v[97:98]
	v_add_f64_e32 v[2:3], v[129:130], v[127:128]
	s_delay_alu instid0(VALU_DEP_3)
	v_add_f64_e32 v[97:98], v[137:138], v[131:132]
	s_and_saveexec_b32 s1, s0
	s_cbranch_execz .LBB0_13
; %bb.12:
	v_add_f64_e32 v[127:128], v[48:49], v[28:29]
	v_mul_f64_e32 v[129:130], s[24:25], v[76:77]
	v_mul_f64_e32 v[131:132], s[18:19], v[76:77]
	;; [unrolled: 1-line block ×7, first 2 shown]
	s_mov_b32 s59, 0x3feec746
	s_mov_b32 s58, s36
	v_mul_f64_e32 v[141:142], s[28:29], v[125:126]
	v_mul_f64_e32 v[143:144], s[4:5], v[125:126]
	;; [unrolled: 1-line block ×7, first 2 shown]
	s_mov_b32 s51, 0xbfeca52d
	s_mov_b32 s50, s30
	;; [unrolled: 1-line block ×8, first 2 shown]
	v_mul_f64_e32 v[163:164], s[16:17], v[121:122]
	v_mul_f64_e32 v[165:166], s[10:11], v[121:122]
	;; [unrolled: 1-line block ×9, first 2 shown]
	v_add_f64_e32 v[127:128], v[60:61], v[127:128]
	v_add_f64_e32 v[123:124], v[123:124], v[129:130]
	v_fma_f64 v[129:130], v[72:73], s[42:43], v[131:132]
	v_fma_f64 v[131:132], v[72:73], s[40:41], v[131:132]
	;; [unrolled: 1-line block ×12, first 2 shown]
	v_mul_f64_e32 v[76:77], s[22:23], v[121:122]
	v_mul_f64_e32 v[121:122], s[28:29], v[121:122]
	v_add_f64_e32 v[119:120], v[119:120], v[141:142]
	v_fma_f64 v[141:142], v[74:75], s[36:37], v[143:144]
	v_fma_f64 v[143:144], v[74:75], s[58:59], v[143:144]
	;; [unrolled: 1-line block ×20, first 2 shown]
	v_add_f64_e32 v[127:128], v[52:53], v[127:128]
	v_add_f64_e32 v[123:124], v[123:124], v[28:29]
	;; [unrolled: 1-line block ×14, first 2 shown]
	v_mul_f64_e32 v[72:73], s[18:19], v[117:118]
	v_mul_f64_e32 v[161:162], s[24:25], v[117:118]
	;; [unrolled: 1-line block ×3, first 2 shown]
	v_add_f64_e32 v[76:77], v[115:116], v[76:77]
	v_fma_f64 v[115:116], v[107:108], s[46:47], v[163:164]
	v_fma_f64 v[163:164], v[107:108], s[44:45], v[163:164]
	;; [unrolled: 1-line block ×4, first 2 shown]
	v_add_f64_e32 v[127:128], v[56:57], v[127:128]
	v_add_f64_e32 v[119:120], v[119:120], v[123:124]
	;; [unrolled: 1-line block ×14, first 2 shown]
	v_mul_f64_e32 v[143:144], s[16:17], v[113:114]
	v_mul_f64_e32 v[145:146], s[22:23], v[113:114]
	;; [unrolled: 1-line block ×7, first 2 shown]
	v_add_f64_e32 v[72:73], v[111:112], v[72:73]
	v_fma_f64 v[111:112], v[101:102], s[56:57], v[161:162]
	v_fma_f64 v[155:156], v[101:102], s[26:27], v[161:162]
	;; [unrolled: 1-line block ×12, first 2 shown]
	v_add_f64_e32 v[127:128], v[68:69], v[127:128]
	v_add_f64_e32 v[76:77], v[76:77], v[119:120]
	;; [unrolled: 1-line block ×12, first 2 shown]
	v_mul_f64_e32 v[135:136], s[12:13], v[109:110]
	v_add_f64_e32 v[28:29], v[199:200], v[28:29]
	v_mul_f64_e32 v[137:138], s[10:11], v[109:110]
	v_mul_f64_e32 v[141:142], s[24:25], v[109:110]
	v_mul_f64_e32 v[163:164], s[16:17], v[109:110]
	v_mul_f64_e32 v[165:166], s[4:5], v[109:110]
	v_add_f64_e32 v[105:106], v[105:106], v[143:144]
	v_fma_f64 v[143:144], v[88:89], s[48:49], v[145:146]
	v_fma_f64 v[145:146], v[88:89], s[38:39], v[145:146]
	;; [unrolled: 1-line block ×9, first 2 shown]
	v_add_f64_e32 v[127:128], v[64:65], v[127:128]
	v_add_f64_e32 v[72:73], v[72:73], v[76:77]
	v_add_f64_e32 v[76:77], v[111:112], v[115:116]
	v_add_f64_e32 v[111:112], v[155:156], v[117:118]
	v_mul_f64_e32 v[155:156], s[22:23], v[103:104]
	v_add_f64_e32 v[115:116], v[159:160], v[121:122]
	v_add_f64_e32 v[117:118], v[173:174], v[123:124]
	v_add_f64_e32 v[121:122], v[175:176], v[129:130]
	v_mul_f64_e32 v[129:130], s[12:13], v[103:104]
	v_add_f64_e32 v[74:75], v[101:102], v[74:75]
	v_add_f64_e32 v[123:124], v[177:178], v[131:132]
	v_mul_f64_e32 v[131:132], s[16:17], v[103:104]
	v_add_f64_e32 v[28:29], v[183:184], v[28:29]
	v_add_f64_e32 v[99:100], v[99:100], v[135:136]
	v_fma_f64 v[135:136], v[84:85], s[34:35], v[137:138]
	v_fma_f64 v[137:138], v[84:85], s[52:53], v[137:138]
	;; [unrolled: 1-line block ×6, first 2 shown]
	v_add_f64_e32 v[127:128], v[44:45], v[127:128]
	v_add_f64_e32 v[72:73], v[105:106], v[72:73]
	;; [unrolled: 1-line block ×4, first 2 shown]
	v_mul_f64_e32 v[143:144], s[10:11], v[90:91]
	v_add_f64_e32 v[111:112], v[147:148], v[115:116]
	v_mul_f64_e32 v[145:146], s[24:25], v[90:91]
	v_mul_f64_e32 v[147:148], s[16:17], v[90:91]
	v_add_f64_e32 v[28:29], v[187:188], v[28:29]
	v_add_f64_e32 v[127:128], v[40:41], v[127:128]
	;; [unrolled: 1-line block ×5, first 2 shown]
	v_fma_f64 v[135:136], v[78:79], s[56:57], v[145:146]
	v_fma_f64 v[137:138], v[78:79], s[26:27], v[145:146]
	v_add_f64_e32 v[127:128], v[36:37], v[127:128]
	s_delay_alu instid0(VALU_DEP_1) | instskip(NEXT) | instid1(VALU_DEP_1)
	v_add_f64_e32 v[127:128], v[32:33], v[127:128]
	v_add_f64_e32 v[107:108], v[24:25], v[127:128]
	;; [unrolled: 1-line block ×3, first 2 shown]
	v_mul_f64_e32 v[139:140], s[22:23], v[109:110]
	v_mul_f64_e32 v[109:110], s[18:19], v[109:110]
	v_fma_f64 v[171:172], v[88:89], s[52:53], v[151:152]
	v_fma_f64 v[151:152], v[88:89], s[34:35], v[151:152]
	;; [unrolled: 1-line block ×3, first 2 shown]
	v_add_f64_e32 v[113:114], v[157:158], v[119:120]
	v_add_f64_e32 v[119:120], v[161:162], v[125:126]
	;; [unrolled: 1-line block ×3, first 2 shown]
	v_mul_f64_e32 v[133:134], s[18:19], v[103:104]
	v_mul_f64_e32 v[157:158], s[28:29], v[103:104]
	v_fma_f64 v[161:162], v[84:85], s[56:57], v[141:142]
	v_fma_f64 v[141:142], v[84:85], s[26:27], v[141:142]
	v_add_f64_e32 v[101:102], v[20:21], v[107:108]
	v_add_f64_e32 v[107:108], v[181:182], v[127:128]
	v_mul_f64_e32 v[127:128], s[10:11], v[103:104]
	v_mul_f64_e32 v[103:104], s[24:25], v[103:104]
	v_fma_f64 v[159:160], v[84:85], s[48:49], v[139:140]
	v_fma_f64 v[139:140], v[84:85], s[38:39], v[139:140]
	;; [unrolled: 1-line block ×4, first 2 shown]
	v_add_f64_e32 v[109:110], v[167:168], v[113:114]
	v_add_f64_e32 v[113:114], v[149:150], v[117:118]
	v_add_f64_e32 v[115:116], v[169:170], v[119:120]
	v_add_f64_e32 v[117:118], v[171:172], v[121:122]
	v_add_f64_e32 v[121:122], v[185:186], v[125:126]
	v_add_f64_e32 v[74:75], v[88:89], v[74:75]
	v_add_f64_e32 v[119:120], v[151:152], v[123:124]
	v_mul_f64_e32 v[123:124], s[28:29], v[90:91]
	v_mul_f64_e32 v[125:126], s[18:19], v[90:91]
	v_fma_f64 v[149:150], v[80:81], s[46:47], v[131:132]
	v_fma_f64 v[131:132], v[80:81], s[44:45], v[131:132]
	;; [unrolled: 1-line block ×6, first 2 shown]
	v_add_f64_e32 v[88:89], v[16:17], v[101:102]
	v_add_f64_e32 v[101:102], v[153:154], v[107:108]
	v_mul_f64_e32 v[107:108], s[4:5], v[90:91]
	v_mul_f64_e32 v[90:91], s[12:13], v[90:91]
	v_add_f64_e32 v[86:87], v[86:87], v[127:128]
	v_fma_f64 v[127:128], v[80:81], s[54:55], v[129:130]
	v_fma_f64 v[129:130], v[80:81], s[20:21], v[129:130]
	;; [unrolled: 1-line block ×6, first 2 shown]
	v_add_f64_e32 v[103:104], v[159:160], v[109:110]
	v_add_f64_e32 v[105:106], v[139:140], v[111:112]
	;; [unrolled: 1-line block ×9, first 2 shown]
	v_fma_f64 v[119:120], v[78:79], s[42:43], v[125:126]
	v_fma_f64 v[121:122], v[78:79], s[40:41], v[125:126]
	;; [unrolled: 1-line block ×5, first 2 shown]
	v_add_f64_e32 v[84:85], v[12:13], v[88:89]
	v_add_f64_e32 v[88:89], v[165:166], v[101:102]
	;; [unrolled: 1-line block ×3, first 2 shown]
	v_fma_f64 v[101:102], v[78:79], s[50:51], v[123:124]
	v_fma_f64 v[107:108], v[78:79], s[30:31], v[123:124]
	;; [unrolled: 1-line block ×5, first 2 shown]
	v_add_f64_e32 v[72:73], v[86:87], v[72:73]
	v_add_f64_e32 v[86:87], v[129:130], v[99:100]
	;; [unrolled: 1-line block ×28, first 2 shown]
	v_mad_u32_u24 v84, 0x88, v96, 0
	ds_store_2addr_b64 v84, v[90:91], v[88:89] offset0:4 offset1:5
	ds_store_2addr_b64 v84, v[82:83], v[72:73] offset0:6 offset1:7
	;; [unrolled: 1-line block ×6, first 2 shown]
	ds_store_2addr_b64 v84, v[78:79], v[74:75] offset1:1
	ds_store_2addr_b64 v84, v[80:81], v[103:104] offset0:2 offset1:3
	ds_store_b64 v84, v[28:29] offset:128
.LBB0_13:
	s_wait_alu 0xfffe
	s_or_b32 exec_lo, exec_lo, s1
	v_add_f64_e64 v[119:120], v[48:49], -v[4:5]
	v_add_f64_e64 v[115:116], v[60:61], -v[8:9]
	v_add_f64_e32 v[113:114], v[50:51], v[6:7]
	v_add_f64_e64 v[109:110], v[52:53], -v[12:13]
	v_add_f64_e32 v[107:108], v[10:11], v[62:63]
	v_add_f64_e32 v[101:102], v[54:55], v[14:15]
	v_add_f64_e64 v[105:106], v[56:57], -v[16:17]
	v_add_f64_e32 v[60:61], v[58:59], v[18:19]
	v_add_f64_e64 v[99:100], v[68:69], -v[20:21]
	v_add_f64_e64 v[56:57], v[64:65], -v[24:25]
	v_add_f64_e32 v[24:25], v[66:67], v[26:27]
	v_add_f64_e64 v[32:33], v[44:45], -v[32:33]
	global_wb scope:SCOPE_SE
	s_wait_dscnt 0x0
	s_barrier_signal -1
	s_barrier_wait -1
	global_inv scope:SCOPE_SE
	s_add_nc_u64 s[2:3], s[14:15], s[2:3]
	v_mul_f64_e32 v[117:118], s[26:27], v[119:120]
	v_mul_f64_e32 v[4:5], s[20:21], v[119:120]
	v_mul_f64_e32 v[111:112], s[30:31], v[115:116]
	v_mul_f64_e32 v[8:9], s[46:47], v[115:116]
	v_mul_f64_e32 v[103:104], s[48:49], v[109:110]
	v_mul_f64_e32 v[16:17], s[26:27], v[109:110]
	v_mul_f64_e32 v[68:69], s[42:43], v[105:106]
	v_mul_f64_e32 v[20:21], s[34:35], v[105:106]
	v_mul_f64_e32 v[44:45], s[30:31], v[56:57]
	v_fma_f64 v[12:13], v[113:114], s[24:25], v[117:118]
	v_fma_f64 v[28:29], v[113:114], s[12:13], -v[4:5]
	v_fma_f64 v[4:5], v[113:114], s[12:13], v[4:5]
	v_fma_f64 v[48:49], v[107:108], s[28:29], v[111:112]
	v_fma_f64 v[52:53], v[107:108], s[16:17], -v[8:9]
	v_fma_f64 v[8:9], v[107:108], s[16:17], v[8:9]
	;; [unrolled: 3-line block ×4, first 2 shown]
	v_add_f64_e32 v[12:13], v[12:13], v[30:31]
	v_add_f64_e32 v[28:29], v[28:29], v[30:31]
	;; [unrolled: 1-line block ×3, first 2 shown]
	s_delay_alu instid0(VALU_DEP_3) | instskip(NEXT) | instid1(VALU_DEP_3)
	v_add_f64_e32 v[12:13], v[12:13], v[48:49]
	v_add_f64_e32 v[28:29], v[28:29], v[52:53]
	s_delay_alu instid0(VALU_DEP_3)
	v_add_f64_e32 v[4:5], v[4:5], v[8:9]
	v_add_f64_e32 v[48:49], v[22:23], v[70:71]
	v_mul_f64_e32 v[52:53], s[44:45], v[99:100]
	v_mul_f64_e32 v[8:9], s[40:41], v[99:100]
	v_add_f64_e32 v[12:13], v[72:73], v[12:13]
	v_add_f64_e32 v[72:73], v[74:75], v[28:29]
	;; [unrolled: 1-line block ×3, first 2 shown]
	v_mul_f64_e32 v[28:29], s[20:21], v[56:57]
	v_fma_f64 v[74:75], v[48:49], s[16:17], v[52:53]
	v_fma_f64 v[78:79], v[48:49], s[18:19], -v[8:9]
	v_fma_f64 v[8:9], v[48:49], s[18:19], v[8:9]
	v_mul_f64_e32 v[16:17], s[34:35], v[32:33]
	v_add_f64_e32 v[64:65], v[64:65], v[12:13]
	v_add_f64_e32 v[72:73], v[76:77], v[72:73]
	;; [unrolled: 1-line block ×4, first 2 shown]
	v_add_f64_e64 v[20:21], v[40:41], -v[36:37]
	v_mul_f64_e32 v[36:37], s[36:37], v[32:33]
	v_fma_f64 v[40:41], v[24:25], s[12:13], v[28:29]
	v_fma_f64 v[76:77], v[24:25], s[28:29], -v[44:45]
	v_fma_f64 v[44:45], v[24:25], s[28:29], v[44:45]
	v_add_f64_e32 v[64:65], v[74:75], v[64:65]
	v_add_f64_e32 v[72:73], v[78:79], v[72:73]
	;; [unrolled: 1-line block ×4, first 2 shown]
	v_mul_f64_e32 v[8:9], s[36:37], v[20:21]
	v_mul_f64_e32 v[78:79], s[38:39], v[20:21]
	v_fma_f64 v[80:81], v[12:13], s[10:11], v[16:17]
	v_fma_f64 v[82:83], v[12:13], s[4:5], -v[36:37]
	v_fma_f64 v[36:37], v[12:13], s[4:5], v[36:37]
	v_add_f64_e32 v[40:41], v[40:41], v[64:65]
	v_add_f64_e32 v[64:65], v[76:77], v[72:73]
	;; [unrolled: 1-line block ×3, first 2 shown]
	v_fma_f64 v[72:73], v[4:5], s[4:5], v[8:9]
	v_fma_f64 v[74:75], v[4:5], s[22:23], -v[78:79]
	v_fma_f64 v[76:77], v[4:5], s[22:23], v[78:79]
	v_add_f64_e32 v[40:41], v[80:81], v[40:41]
	v_add_f64_e32 v[64:65], v[82:83], v[64:65]
	;; [unrolled: 1-line block ×3, first 2 shown]
	s_delay_alu instid0(VALU_DEP_3) | instskip(NEXT) | instid1(VALU_DEP_3)
	v_add_f64_e32 v[36:37], v[72:73], v[40:41]
	v_add_f64_e32 v[72:73], v[74:75], v[64:65]
	s_delay_alu instid0(VALU_DEP_3) | instskip(SKIP_1) | instid1(VALU_DEP_1)
	v_add_f64_e32 v[74:75], v[76:77], v[44:45]
	v_lshl_add_u32 v64, v96, 3, 0
	v_add_nc_u32_e32 v40, 0xa00, v64
	v_add_nc_u32_e32 v41, 0x1600, v64
	;; [unrolled: 1-line block ×3, first 2 shown]
	ds_load_2addr_b64 v[80:83], v64 offset1:187
	ds_load_2addr_b64 v[88:91], v40 offset0:54 offset1:241
	ds_load_2addr_b64 v[76:79], v41 offset0:44 offset1:231
	;; [unrolled: 1-line block ×3, first 2 shown]
	global_wb scope:SCOPE_SE
	s_wait_dscnt 0x0
	s_barrier_signal -1
	s_barrier_wait -1
	global_inv scope:SCOPE_SE
	s_and_saveexec_b32 s33, s0
	s_cbranch_execz .LBB0_15
; %bb.14:
	v_add_f64_e32 v[50:51], v[50:51], v[30:31]
	s_mov_b32 s26, 0x5d8e7cdc
	s_mov_b32 s44, 0x2a9d6da3
	;; [unrolled: 1-line block ×10, first 2 shown]
	s_wait_alu 0xfffe
	v_mul_f64_e32 v[121:122], s[48:49], v[119:120]
	v_mul_f64_e32 v[123:124], s[30:31], v[119:120]
	s_mov_b32 s1, 0xbfeca52d
	s_mov_b32 s0, 0x7c9e640b
	v_mul_f64_e32 v[125:126], s[22:23], v[101:102]
	s_mov_b32 s22, 0x370991
	s_mov_b32 s20, 0x75d4884
	;; [unrolled: 1-line block ×12, first 2 shown]
	v_mul_f64_e32 v[127:128], s[38:39], v[115:116]
	v_mul_f64_e32 v[129:130], s[30:31], v[115:116]
	s_wait_alu 0xfffe
	v_mul_f64_e32 v[131:132], s[42:43], v[115:116]
	v_mul_f64_e32 v[133:134], s[54:55], v[115:116]
	s_mov_b32 s14, 0x2b2883cd
	s_mov_b32 s15, 0x3fdc86fa
	;; [unrolled: 1-line block ×6, first 2 shown]
	v_add_f64_e32 v[50:51], v[62:63], v[50:51]
	v_mul_f64_e32 v[62:63], s[26:27], v[119:120]
	s_mov_b32 s51, 0x3fc7851a
	s_mov_b32 s47, 0x3fe58eea
	;; [unrolled: 1-line block ×4, first 2 shown]
	v_mul_f64_e32 v[145:146], s[26:27], v[109:110]
	s_wait_alu 0xfffe
	v_mul_f64_e32 v[147:148], s[50:51], v[109:110]
	v_mul_f64_e32 v[149:150], s[52:53], v[109:110]
	s_mov_b32 s51, 0xbfe0d888
	s_mov_b32 s50, s54
	v_fma_f64 v[139:140], v[113:114], s[40:41], -v[121:122]
	v_fma_f64 v[121:122], v[113:114], s[40:41], v[121:122]
	v_mul_f64_e32 v[161:162], s[0:1], v[105:106]
	v_mul_f64_e32 v[163:164], s[52:53], v[105:106]
	v_add_f64_e64 v[103:104], v[125:126], -v[103:104]
	v_fma_f64 v[155:156], v[107:108], s[34:35], -v[131:132]
	v_fma_f64 v[131:132], v[107:108], s[34:35], v[131:132]
	v_fma_f64 v[157:158], v[107:108], s[36:37], -v[133:134]
	v_fma_f64 v[133:134], v[107:108], s[36:37], v[133:134]
	v_add_f64_e32 v[50:51], v[54:55], v[50:51]
	v_mul_f64_e32 v[54:55], s[24:25], v[113:114]
	s_mov_b32 s24, 0x6ed5f1bb
	s_mov_b32 s25, 0xbfe348c8
	s_wait_alu 0xfffe
	v_fma_f64 v[141:142], v[113:114], s[24:25], -v[123:124]
	v_fma_f64 v[123:124], v[113:114], s[24:25], v[123:124]
	v_fma_f64 v[153:154], v[107:108], s[24:25], -v[129:130]
	v_fma_f64 v[129:130], v[107:108], s[24:25], v[129:130]
	;; [unrolled: 2-line block ×3, first 2 shown]
	v_fma_f64 v[171:172], v[101:102], s[34:35], -v[147:148]
	v_add_f64_e32 v[121:122], v[121:122], v[30:31]
	v_fma_f64 v[147:148], v[101:102], s[34:35], v[147:148]
	v_fma_f64 v[173:174], v[101:102], s[40:41], -v[149:150]
	v_fma_f64 v[149:150], v[101:102], s[40:41], v[149:150]
	v_add_f64_e32 v[50:51], v[58:59], v[50:51]
	v_mul_f64_e32 v[58:59], s[28:29], v[107:108]
	s_mov_b32 s28, 0x3259b75e
	s_mov_b32 s29, 0x3fb79ee6
	v_add_f64_e64 v[54:55], v[54:55], -v[117:118]
	v_fma_f64 v[117:118], v[113:114], s[22:23], -v[62:63]
	v_fma_f64 v[62:63], v[113:114], s[22:23], v[62:63]
	s_wait_alu 0xfffe
	v_fma_f64 v[151:152], v[107:108], s[28:29], -v[127:128]
	v_fma_f64 v[127:128], v[107:108], s[28:29], v[127:128]
	v_add_f64_e32 v[123:124], v[123:124], v[30:31]
	v_add_f64_e32 v[121:122], v[121:122], v[133:134]
	v_mul_f64_e32 v[133:134], s[46:47], v[99:100]
	v_add_f64_e32 v[50:51], v[70:71], v[50:51]
	v_mul_f64_e32 v[70:71], s[38:39], v[119:120]
	v_add_f64_e64 v[58:59], v[58:59], -v[111:112]
	v_add_f64_e32 v[54:55], v[54:55], v[30:31]
	s_delay_alu instid0(VALU_DEP_4)
	v_add_f64_e32 v[50:51], v[66:67], v[50:51]
	v_mul_f64_e32 v[65:66], s[44:45], v[119:120]
	v_mul_f64_e32 v[119:120], s[0:1], v[119:120]
	v_fma_f64 v[137:138], v[113:114], s[28:29], -v[70:71]
	v_fma_f64 v[70:71], v[113:114], s[28:29], v[70:71]
	v_add_f64_e32 v[54:55], v[54:55], v[58:59]
	v_add_f64_e32 v[45:46], v[46:47], v[50:51]
	v_mul_f64_e32 v[50:51], s[44:45], v[115:116]
	v_mul_f64_e32 v[115:116], s[52:53], v[115:116]
	v_fma_f64 v[135:136], v[113:114], s[20:21], -v[65:66]
	v_fma_f64 v[65:66], v[113:114], s[20:21], v[65:66]
	v_fma_f64 v[143:144], v[113:114], s[14:15], v[119:120]
	v_add_f64_e32 v[70:71], v[70:71], v[30:31]
	v_add_f64_e32 v[54:55], v[103:104], v[54:55]
	;; [unrolled: 1-line block ×3, first 2 shown]
	v_fma_f64 v[45:46], v[113:114], s[14:15], -v[119:120]
	v_mul_f64_e32 v[113:114], s[0:1], v[109:110]
	v_mul_f64_e32 v[119:120], s[30:31], v[109:110]
	;; [unrolled: 1-line block ×3, first 2 shown]
	v_fma_f64 v[111:112], v[107:108], s[20:21], -v[50:51]
	v_fma_f64 v[50:51], v[107:108], s[20:21], v[50:51]
	v_fma_f64 v[159:160], v[107:108], s[40:41], -v[115:116]
	v_fma_f64 v[107:108], v[107:108], s[40:41], v[115:116]
	v_add_f64_e32 v[115:116], v[117:118], v[30:31]
	v_add_f64_e32 v[117:118], v[135:136], v[30:31]
	;; [unrolled: 1-line block ×7, first 2 shown]
	v_mul_f64_e32 v[143:144], s[42:43], v[105:106]
	v_add_f64_e32 v[70:71], v[70:71], v[131:132]
	v_mul_f64_e32 v[131:132], s[42:43], v[99:100]
	v_add_f64_e32 v[38:39], v[38:39], v[42:43]
	v_add_f64_e32 v[42:43], v[45:46], v[30:31]
	;; [unrolled: 1-line block ×3, first 2 shown]
	v_mul_f64_e32 v[45:46], s[18:19], v[60:61]
	s_mov_b32 s19, 0x3fd71e95
	s_mov_b32 s18, s26
	v_mul_f64_e32 v[62:63], s[38:39], v[105:106]
	s_wait_alu 0xfffe
	v_mul_f64_e32 v[165:166], s[18:19], v[105:106]
	v_mul_f64_e32 v[105:106], s[50:51], v[105:106]
	v_fma_f64 v[125:126], v[101:102], s[14:15], -v[113:114]
	v_fma_f64 v[113:114], v[101:102], s[14:15], v[113:114]
	v_fma_f64 v[167:168], v[101:102], s[24:25], -v[119:120]
	v_fma_f64 v[119:120], v[101:102], s[24:25], v[119:120]
	v_fma_f64 v[175:176], v[101:102], s[20:21], -v[109:110]
	v_fma_f64 v[101:102], v[101:102], s[20:21], v[109:110]
	v_add_f64_e32 v[58:59], v[115:116], v[111:112]
	v_add_f64_e32 v[109:110], v[117:118], v[151:152]
	;; [unrolled: 1-line block ×8, first 2 shown]
	v_mul_f64_e32 v[127:128], s[54:55], v[99:100]
	v_mul_f64_e32 v[129:130], s[0:1], v[99:100]
	v_fma_f64 v[135:136], v[60:61], s[34:35], -v[143:144]
	v_fma_f64 v[137:138], v[60:61], s[34:35], v[143:144]
	v_fma_f64 v[139:140], v[60:61], s[14:15], -v[161:162]
	v_fma_f64 v[141:142], v[60:61], s[14:15], v[161:162]
	;; [unrolled: 2-line block ×3, first 2 shown]
	s_mov_b32 s1, 0x3feca52d
	v_add_f64_e32 v[34:35], v[34:35], v[38:39]
	v_add_f64_e32 v[38:39], v[42:43], v[153:154]
	;; [unrolled: 1-line block ×3, first 2 shown]
	v_mul_f64_e32 v[42:43], s[16:17], v[48:49]
	s_mov_b32 s17, 0x3fefdd0d
	s_mov_b32 s16, s38
	v_mul_f64_e32 v[50:51], s[48:49], v[99:100]
	s_wait_alu 0xfffe
	v_mul_f64_e32 v[99:100], s[16:17], v[99:100]
	v_add_f64_e64 v[45:46], v[45:46], -v[68:69]
	v_fma_f64 v[67:68], v[60:61], s[28:29], -v[62:63]
	v_fma_f64 v[62:63], v[60:61], s[28:29], v[62:63]
	v_fma_f64 v[153:154], v[60:61], s[22:23], -v[165:166]
	v_fma_f64 v[155:156], v[60:61], s[22:23], v[165:166]
	;; [unrolled: 2-line block ×3, first 2 shown]
	v_add_f64_e32 v[58:59], v[125:126], v[58:59]
	v_add_f64_e32 v[103:104], v[167:168], v[109:110]
	;; [unrolled: 1-line block ×10, first 2 shown]
	v_mul_f64_e32 v[117:118], s[26:27], v[56:57]
	v_mul_f64_e32 v[119:120], s[44:45], v[56:57]
	;; [unrolled: 1-line block ×4, first 2 shown]
	v_fma_f64 v[125:126], v[48:49], s[36:37], -v[127:128]
	v_fma_f64 v[127:128], v[48:49], s[36:37], v[127:128]
	v_fma_f64 v[145:146], v[48:49], s[14:15], -v[129:130]
	v_fma_f64 v[129:130], v[48:49], s[14:15], v[129:130]
	v_fma_f64 v[147:148], v[48:49], s[34:35], -v[131:132]
	v_fma_f64 v[131:132], v[48:49], s[34:35], v[131:132]
	v_fma_f64 v[149:150], v[48:49], s[20:21], -v[133:134]
	v_fma_f64 v[133:134], v[48:49], s[20:21], v[133:134]
	v_add_f64_e32 v[26:27], v[26:27], v[34:35]
	v_add_f64_e32 v[34:35], v[171:172], v[38:39]
	;; [unrolled: 1-line block ×3, first 2 shown]
	v_mul_f64_e32 v[38:39], s[12:13], v[24:25]
	v_mul_f64_e32 v[113:114], s[30:31], v[56:57]
	;; [unrolled: 1-line block ×3, first 2 shown]
	v_add_f64_e64 v[42:43], v[42:43], -v[52:53]
	v_fma_f64 v[52:53], v[48:49], s[40:41], -v[50:51]
	v_fma_f64 v[50:51], v[48:49], s[40:41], v[50:51]
	v_fma_f64 v[159:160], v[48:49], s[28:29], -v[99:100]
	v_fma_f64 v[47:48], v[48:49], s[28:29], v[99:100]
	v_add_f64_e32 v[45:46], v[45:46], v[54:55]
	v_add_f64_e32 v[54:55], v[67:68], v[58:59]
	;; [unrolled: 1-line block ×11, first 2 shown]
	v_mul_f64_e32 v[107:108], s[26:27], v[32:33]
	v_mul_f64_e32 v[109:110], s[42:43], v[32:33]
	;; [unrolled: 1-line block ×4, first 2 shown]
	v_fma_f64 v[135:136], v[24:25], s[22:23], -v[117:118]
	v_fma_f64 v[117:118], v[24:25], s[22:23], v[117:118]
	v_fma_f64 v[137:138], v[24:25], s[20:21], -v[119:120]
	v_fma_f64 v[119:120], v[24:25], s[20:21], v[119:120]
	;; [unrolled: 2-line block ×4, first 2 shown]
	v_add_f64_e32 v[22:23], v[22:23], v[26:27]
	v_add_f64_e32 v[26:27], v[143:144], v[34:35]
	;; [unrolled: 1-line block ×3, first 2 shown]
	v_mul_f64_e32 v[34:35], s[10:11], v[12:13]
	s_mov_b32 s11, 0x3fe9895b
	s_mov_b32 s10, s30
	v_mul_f64_e32 v[62:63], s[38:39], v[32:33]
	s_wait_alu 0xfffe
	v_mul_f64_e32 v[32:33], s[10:11], v[32:33]
	v_add_f64_e64 v[28:29], v[38:39], -v[28:29]
	v_fma_f64 v[38:39], v[24:25], s[24:25], -v[113:114]
	v_fma_f64 v[113:114], v[24:25], s[24:25], v[113:114]
	v_fma_f64 v[143:144], v[24:25], s[28:29], -v[56:57]
	v_fma_f64 v[24:25], v[24:25], s[28:29], v[56:57]
	v_add_f64_e32 v[42:43], v[42:43], v[45:46]
	v_add_f64_e32 v[45:46], v[52:53], v[54:55]
	;; [unrolled: 1-line block ×11, first 2 shown]
	v_mul_f64_e32 v[99:100], s[30:31], v[20:21]
	v_mul_f64_e32 v[101:102], s[18:19], v[20:21]
	;; [unrolled: 1-line block ×4, first 2 shown]
	v_fma_f64 v[125:126], v[12:13], s[22:23], -v[107:108]
	v_fma_f64 v[107:108], v[12:13], s[22:23], v[107:108]
	v_fma_f64 v[127:128], v[12:13], s[34:35], -v[109:110]
	v_fma_f64 v[109:110], v[12:13], s[34:35], v[109:110]
	;; [unrolled: 2-line block ×4, first 2 shown]
	v_add_f64_e32 v[18:19], v[18:19], v[22:23]
	v_add_f64_e32 v[22:23], v[149:150], v[26:27]
	;; [unrolled: 1-line block ×3, first 2 shown]
	v_mul_f64_e32 v[30:31], s[4:5], v[4:5]
	v_mul_f64_e32 v[49:50], s[42:43], v[20:21]
	;; [unrolled: 1-line block ×3, first 2 shown]
	v_add_f64_e64 v[16:17], v[34:35], -v[16:17]
	v_fma_f64 v[34:35], v[12:13], s[28:29], -v[62:63]
	v_fma_f64 v[62:63], v[12:13], s[28:29], v[62:63]
	v_fma_f64 v[133:134], v[12:13], s[24:25], -v[32:33]
	v_fma_f64 v[12:13], v[12:13], s[24:25], v[32:33]
	v_add_f64_e32 v[28:29], v[28:29], v[42:43]
	v_add_f64_e32 v[32:33], v[38:39], v[45:46]
	;; [unrolled: 1-line block ×11, first 2 shown]
	v_fma_f64 v[59:60], v[4:5], s[24:25], v[99:100]
	v_fma_f64 v[65:66], v[4:5], s[22:23], -v[101:102]
	v_fma_f64 v[67:68], v[4:5], s[22:23], v[101:102]
	v_fma_f64 v[69:70], v[4:5], s[36:37], -v[103:104]
	v_fma_f64 v[101:102], v[4:5], s[20:21], -v[105:106]
	v_add_f64_e32 v[14:15], v[14:15], v[18:19]
	v_add_f64_e32 v[18:19], v[135:136], v[22:23]
	;; [unrolled: 1-line block ×3, first 2 shown]
	v_add_f64_e64 v[8:9], v[30:31], -v[8:9]
	v_fma_f64 v[26:27], v[4:5], s[34:35], -v[49:50]
	v_fma_f64 v[30:31], v[4:5], s[34:35], v[49:50]
	v_fma_f64 v[49:50], v[4:5], s[24:25], -v[99:100]
	v_fma_f64 v[99:100], v[4:5], s[36:37], v[103:104]
	v_fma_f64 v[103:104], v[4:5], s[20:21], v[105:106]
	v_fma_f64 v[105:106], v[4:5], s[14:15], -v[20:21]
	v_fma_f64 v[4:5], v[4:5], s[14:15], v[20:21]
	v_add_f64_e32 v[16:17], v[16:17], v[28:29]
	v_add_f64_e32 v[20:21], v[129:130], v[32:33]
	;; [unrolled: 1-line block ×28, first 2 shown]
	v_lshl_add_u32 v18, v96, 7, v64
	ds_store_2addr_b64 v18, v[26:27], v[28:29] offset0:4 offset1:5
	ds_store_2addr_b64 v18, v[32:33], v[8:9] offset0:6 offset1:7
	;; [unrolled: 1-line block ×6, first 2 shown]
	ds_store_2addr_b64 v18, v[6:7], v[16:17] offset1:1
	ds_store_2addr_b64 v18, v[20:21], v[10:11] offset0:2 offset1:3
	ds_store_b64 v18, v[14:15] offset:128
.LBB0_15:
	s_or_b32 exec_lo, exec_lo, s33
	v_and_b32_e32 v4, 0xff, v96
	s_load_b64 s[2:3], s[2:3], 0x0
	global_wb scope:SCOPE_SE
	s_wait_dscnt 0x0
	s_wait_kmcnt 0x0
	s_barrier_signal -1
	s_barrier_wait -1
	v_mul_lo_u16 v4, 0xf1, v4
	global_inv scope:SCOPE_SE
	s_mov_b32 s0, 0x667f3bcd
	s_mov_b32 s1, 0x3fe6a09e
	;; [unrolled: 1-line block ×3, first 2 shown]
	v_lshrrev_b16 v63, 12, v4
	s_wait_alu 0xfffe
	s_mov_b32 s4, s0
	s_delay_alu instid0(VALU_DEP_1) | instskip(NEXT) | instid1(VALU_DEP_1)
	v_mul_lo_u16 v4, v63, 17
	v_sub_nc_u16 v4, v96, v4
	s_delay_alu instid0(VALU_DEP_1) | instskip(NEXT) | instid1(VALU_DEP_1)
	v_and_b32_e32 v67, 0xff, v4
	v_mul_u32_u24_e32 v4, 7, v67
	s_delay_alu instid0(VALU_DEP_1)
	v_lshlrev_b32_e32 v24, 4, v4
	s_clause 0x6
	global_load_b128 v[4:7], v24, s[8:9]
	global_load_b128 v[12:15], v24, s[8:9] offset:16
	global_load_b128 v[16:19], v24, s[8:9] offset:32
	;; [unrolled: 1-line block ×6, first 2 shown]
	ds_load_2addr_b64 v[24:27], v64 offset1:187
	ds_load_2addr_b64 v[32:35], v40 offset0:54 offset1:241
	ds_load_2addr_b64 v[28:31], v41 offset0:44 offset1:231
	;; [unrolled: 1-line block ×3, first 2 shown]
	global_wb scope:SCOPE_SE
	s_wait_loadcnt_dscnt 0x0
	s_barrier_signal -1
	s_barrier_wait -1
	global_inv scope:SCOPE_SE
	v_mul_f64_e32 v[42:43], v[26:27], v[6:7]
	v_mul_f64_e32 v[53:54], v[32:33], v[14:15]
	;; [unrolled: 1-line block ×13, first 2 shown]
	v_fma_f64 v[42:43], v[82:83], v[4:5], v[42:43]
	v_fma_f64 v[53:54], v[88:89], v[12:13], v[53:54]
	v_fma_f64 v[32:33], v[32:33], v[12:13], -v[14:15]
	v_fma_f64 v[12:13], v[90:91], v[16:17], v[55:56]
	v_fma_f64 v[14:15], v[34:35], v[16:17], -v[18:19]
	v_fma_f64 v[16:17], v[76:77], v[8:9], v[57:58]
	v_fma_f64 v[18:19], v[84:85], v[20:21], v[59:60]
	v_fma_f64 v[34:35], v[78:79], v[45:46], v[61:62]
	v_fma_f64 v[20:21], v[38:39], v[20:21], -v[22:23]
	v_fma_f64 v[22:23], v[86:87], v[49:50], v[65:66]
	v_fma_f64 v[38:39], v[40:41], v[49:50], -v[51:52]
	v_fma_f64 v[4:5], v[26:27], v[4:5], -v[6:7]
	;; [unrolled: 1-line block ×3, first 2 shown]
	v_add_f64_e64 v[16:17], v[80:81], -v[16:17]
	v_add_f64_e64 v[26:27], v[53:54], -v[18:19]
	;; [unrolled: 1-line block ×7, first 2 shown]
	v_fma_f64 v[44:45], v[80:81], 2.0, -v[16:17]
	v_fma_f64 v[34:35], v[53:54], 2.0, -v[26:27]
	;; [unrolled: 1-line block ×3, first 2 shown]
	v_add_f64_e32 v[46:47], v[16:17], v[30:31]
	v_fma_f64 v[12:13], v[12:13], 2.0, -v[20:21]
	v_add_f64_e32 v[48:49], v[18:19], v[22:23]
	v_fma_f64 v[38:39], v[4:5], 2.0, -v[6:7]
	v_fma_f64 v[4:5], v[14:15], 2.0, -v[22:23]
	v_add_f64_e64 v[50:51], v[6:7], -v[20:21]
	v_add_f64_e64 v[14:15], v[44:45], -v[34:35]
	v_fma_f64 v[52:53], v[16:17], 2.0, -v[46:47]
	v_add_f64_e64 v[34:35], v[42:43], -v[12:13]
	v_fma_f64 v[54:55], v[18:19], 2.0, -v[48:49]
	;; [unrolled: 2-line block ×3, first 2 shown]
	v_fma_f64 v[4:5], v[48:49], s[0:1], v[46:47]
	v_fma_f64 v[6:7], v[44:45], 2.0, -v[14:15]
	v_mul_f64_e32 v[44:45], s[0:1], v[48:49]
	v_mul_f64_e32 v[48:49], s[0:1], v[50:51]
	v_fma_f64 v[12:13], v[42:43], 2.0, -v[34:35]
	s_wait_alu 0xfffe
	v_fma_f64 v[22:23], v[54:55], s[4:5], v[52:53]
	v_mul_f64_e32 v[42:43], s[0:1], v[54:55]
	v_add_f64_e32 v[16:17], v[14:15], v[40:41]
	v_fma_f64 v[18:19], v[50:51], s[0:1], v[4:5]
	v_and_b32_e32 v50, 0xffff, v63
	v_lshlrev_b32_e32 v51, 3, v67
	s_delay_alu instid0(VALU_DEP_2) | instskip(NEXT) | instid1(VALU_DEP_1)
	v_mul_u32_u24_e32 v50, 0x440, v50
	v_add3_u32 v50, 0, v50, v51
	v_add_f64_e64 v[20:21], v[6:7], -v[12:13]
	v_fma_f64 v[22:23], v[56:57], s[0:1], v[22:23]
	v_fma_f64 v[12:13], v[14:15], 2.0, -v[16:17]
	v_fma_f64 v[14:15], v[46:47], 2.0, -v[18:19]
	v_mul_f64_e32 v[46:47], s[0:1], v[56:57]
	v_cmp_gt_u32_e64 s0, 0x88, v96
	v_fma_f64 v[4:5], v[6:7], 2.0, -v[20:21]
	v_fma_f64 v[6:7], v[52:53], 2.0, -v[22:23]
	ds_store_2addr_b64 v50, v[16:17], v[18:19] offset0:102 offset1:119
	ds_store_2addr_b64 v50, v[12:13], v[14:15] offset0:34 offset1:51
	;; [unrolled: 1-line block ×3, first 2 shown]
	ds_store_2addr_b64 v50, v[4:5], v[6:7] offset1:17
	global_wb scope:SCOPE_SE
	s_wait_dscnt 0x0
	s_barrier_signal -1
	s_barrier_wait -1
	global_inv scope:SCOPE_SE
	s_and_saveexec_b32 s1, s0
	s_cbranch_execz .LBB0_17
; %bb.16:
	v_add_nc_u32_e32 v0, 0x800, v64
	v_add_nc_u32_e32 v1, 0x1000, v64
	;; [unrolled: 1-line block ×4, first 2 shown]
	ds_load_2addr_b64 v[4:7], v64 offset1:136
	ds_load_2addr_b64 v[12:15], v0 offset0:16 offset1:152
	ds_load_2addr_b64 v[20:23], v1 offset0:32 offset1:168
	;; [unrolled: 1-line block ×4, first 2 shown]
	ds_load_b64 v[97:98], v64 offset:10880
.LBB0_17:
	s_wait_alu 0xfffe
	s_or_b32 exec_lo, exec_lo, s1
	v_mul_f64_e32 v[10:11], v[76:77], v[10:11]
	global_wb scope:SCOPE_SE
	s_wait_dscnt 0x0
	s_barrier_signal -1
	s_barrier_wait -1
	global_inv scope:SCOPE_SE
	v_fma_f64 v[8:9], v[28:29], v[8:9], -v[10:11]
	v_fma_f64 v[10:11], v[32:33], 2.0, -v[30:31]
	s_delay_alu instid0(VALU_DEP_2) | instskip(NEXT) | instid1(VALU_DEP_1)
	v_add_f64_e64 v[8:9], v[24:25], -v[8:9]
	v_fma_f64 v[24:25], v[24:25], 2.0, -v[8:9]
	v_add_f64_e64 v[26:27], v[8:9], -v[26:27]
	s_delay_alu instid0(VALU_DEP_2) | instskip(NEXT) | instid1(VALU_DEP_2)
	v_add_f64_e64 v[10:11], v[24:25], -v[10:11]
	v_fma_f64 v[51:52], v[8:9], 2.0, -v[26:27]
	v_fma_f64 v[8:9], v[38:39], 2.0, -v[40:41]
	v_add_f64_e32 v[30:31], v[26:27], v[48:49]
	s_delay_alu instid0(VALU_DEP_4) | instskip(NEXT) | instid1(VALU_DEP_4)
	v_fma_f64 v[38:39], v[24:25], 2.0, -v[10:11]
	v_add_f64_e64 v[24:25], v[51:52], -v[46:47]
	v_add_f64_e64 v[28:29], v[10:11], -v[34:35]
	s_delay_alu instid0(VALU_DEP_4) | instskip(NEXT) | instid1(VALU_DEP_4)
	v_add_f64_e64 v[30:31], v[30:31], -v[44:45]
	v_add_f64_e64 v[32:33], v[38:39], -v[8:9]
	s_delay_alu instid0(VALU_DEP_4) | instskip(NEXT) | instid1(VALU_DEP_4)
	v_add_f64_e64 v[34:35], v[24:25], -v[42:43]
	v_fma_f64 v[24:25], v[10:11], 2.0, -v[28:29]
	s_delay_alu instid0(VALU_DEP_4) | instskip(NEXT) | instid1(VALU_DEP_4)
	v_fma_f64 v[26:27], v[26:27], 2.0, -v[30:31]
	v_fma_f64 v[8:9], v[38:39], 2.0, -v[32:33]
	s_delay_alu instid0(VALU_DEP_4)
	v_fma_f64 v[10:11], v[51:52], 2.0, -v[34:35]
	ds_store_2addr_b64 v50, v[28:29], v[30:31] offset0:102 offset1:119
	ds_store_2addr_b64 v50, v[24:25], v[26:27] offset0:34 offset1:51
	;; [unrolled: 1-line block ×3, first 2 shown]
	ds_store_2addr_b64 v50, v[8:9], v[10:11] offset1:17
	global_wb scope:SCOPE_SE
	s_wait_dscnt 0x0
	s_barrier_signal -1
	s_barrier_wait -1
	global_inv scope:SCOPE_SE
	s_and_saveexec_b32 s1, s0
	s_cbranch_execnz .LBB0_20
; %bb.18:
	s_wait_alu 0xfffe
	s_or_b32 exec_lo, exec_lo, s1
	s_and_b32 s0, vcc_lo, s0
	s_wait_alu 0xfffe
	s_and_saveexec_b32 s1, s0
	s_cbranch_execnz .LBB0_21
.LBB0_19:
	s_endpgm
.LBB0_20:
	v_add_nc_u32_e32 v24, 0x800, v64
	v_add_nc_u32_e32 v28, 0x1000, v64
	v_add_nc_u32_e32 v29, 0x1800, v64
	v_add_nc_u32_e32 v36, 0x2000, v64
	ds_load_2addr_b64 v[8:11], v64 offset1:136
	ds_load_2addr_b64 v[24:27], v24 offset0:16 offset1:152
	ds_load_2addr_b64 v[32:35], v28 offset0:32 offset1:168
	;; [unrolled: 1-line block ×4, first 2 shown]
	ds_load_b64 v[36:37], v64 offset:10880
	s_wait_alu 0xfffe
	s_or_b32 exec_lo, exec_lo, s1
	s_and_b32 s0, vcc_lo, s0
	s_wait_alu 0xfffe
	s_and_saveexec_b32 s1, s0
	s_cbranch_execz .LBB0_19
.LBB0_21:
	v_mul_u32_u24_e32 v38, 10, v96
	s_mov_b32 s16, 0xbb3a28a1
	s_mov_b32 s18, 0xfd768dbf
	;; [unrolled: 1-line block ×4, first 2 shown]
	v_lshlrev_b32_e32 v70, 4, v38
	s_mov_b32 s15, 0x3fed1bb4
	s_mov_b32 s14, 0x8eee2c13
	;; [unrolled: 1-line block ×4, first 2 shown]
	s_clause 0x9
	global_load_b128 v[38:41], v70, s[8:9] offset:1904
	global_load_b128 v[42:45], v70, s[8:9] offset:1968
	;; [unrolled: 1-line block ×10, first 2 shown]
	s_mov_b32 s27, 0xbfefac9e
	s_mov_b32 s21, 0x3fe14ced
	;; [unrolled: 1-line block ×3, first 2 shown]
	s_wait_alu 0xfffe
	s_mov_b32 s24, s20
	s_mov_b32 s8, 0x7f775887
	;; [unrolled: 1-line block ×15, first 2 shown]
	s_wait_loadcnt 0x9
	v_mul_f64_e32 v[70:71], v[6:7], v[40:41]
	s_wait_dscnt 0x5
	v_mul_f64_e32 v[40:41], v[10:11], v[40:41]
	s_wait_loadcnt_dscnt 0x803
	v_mul_f64_e32 v[84:85], v[34:35], v[44:45]
	v_mul_f64_e32 v[44:45], v[22:23], v[44:45]
	s_wait_loadcnt_dscnt 0x702
	v_mul_f64_e32 v[86:87], v[28:29], v[48:49]
	;; [unrolled: 3-line block ×3, first 2 shown]
	s_wait_loadcnt 0x2
	v_mul_f64_e32 v[103:104], v[24:25], v[68:69]
	v_mul_f64_e32 v[68:69], v[12:13], v[68:69]
	s_wait_loadcnt_dscnt 0x0
	v_mul_f64_e32 v[107:108], v[36:37], v[82:83]
	v_mul_f64_e32 v[82:83], v[97:98], v[82:83]
	;; [unrolled: 1-line block ×11, first 2 shown]
	v_fma_f64 v[70:71], v[10:11], v[38:39], -v[70:71]
	v_fma_f64 v[40:41], v[6:7], v[38:39], v[40:41]
	v_fma_f64 v[38:39], v[22:23], v[42:43], v[84:85]
	v_fma_f64 v[34:35], v[34:35], v[42:43], -v[44:45]
	v_fma_f64 v[22:23], v[16:17], v[46:47], v[86:87]
	v_fma_f64 v[28:29], v[28:29], v[46:47], -v[48:49]
	v_fma_f64 v[6:7], v[0:1], v[62:63], v[101:102]
	v_fma_f64 v[12:13], v[12:13], v[66:67], v[103:104]
	v_fma_f64 v[24:25], v[24:25], v[66:67], -v[68:69]
	v_fma_f64 v[0:1], v[97:98], v[80:81], v[107:108]
	v_fma_f64 v[42:43], v[36:37], v[80:81], -v[82:83]
	v_fma_f64 v[20:21], v[20:21], v[50:51], v[88:89]
	v_fma_f64 v[16:17], v[18:19], v[54:55], v[90:91]
	v_fma_f64 v[32:33], v[32:33], v[50:51], -v[52:53]
	v_fma_f64 v[18:19], v[30:31], v[54:55], -v[56:57]
	v_fma_f64 v[14:15], v[14:15], v[58:59], v[99:100]
	v_fma_f64 v[26:27], v[26:27], v[58:59], -v[60:61]
	v_fma_f64 v[10:11], v[72:73], v[62:63], -v[64:65]
	v_fma_f64 v[2:3], v[2:3], v[76:77], v[105:106]
	v_fma_f64 v[30:31], v[74:75], v[76:77], -v[78:79]
	v_add_f64_e32 v[36:37], v[8:9], v[70:71]
	v_add_f64_e32 v[44:45], v[4:5], v[40:41]
	v_add_f64_e64 v[46:47], v[38:39], -v[22:23]
	v_add_f64_e64 v[56:57], v[34:35], -v[28:29]
	v_add_f64_e32 v[66:67], v[34:35], v[28:29]
	v_add_f64_e32 v[74:75], v[38:39], v[22:23]
	v_add_f64_e64 v[54:55], v[40:41], -v[0:1]
	v_add_f64_e64 v[64:65], v[70:71], -v[42:43]
	v_add_f64_e32 v[70:71], v[70:71], v[42:43]
	v_add_f64_e64 v[48:49], v[20:21], -v[16:17]
	v_add_f64_e32 v[40:41], v[40:41], v[0:1]
	v_add_f64_e64 v[58:59], v[32:33], -v[18:19]
	v_add_f64_e64 v[50:51], v[14:15], -v[6:7]
	v_add_f64_e32 v[78:79], v[14:15], v[6:7]
	v_add_f64_e64 v[60:61], v[26:27], -v[10:11]
	v_add_f64_e32 v[72:73], v[26:27], v[10:11]
	v_add_f64_e64 v[52:53], v[12:13], -v[2:3]
	v_add_f64_e64 v[62:63], v[24:25], -v[30:31]
	v_add_f64_e32 v[76:77], v[20:21], v[16:17]
	v_add_f64_e32 v[68:69], v[32:33], v[18:19]
	;; [unrolled: 1-line block ×6, first 2 shown]
	v_mul_f64_e32 v[105:106], s[14:15], v[46:47]
	v_mul_f64_e32 v[80:81], s[26:27], v[46:47]
	;; [unrolled: 1-line block ×12, first 2 shown]
	s_wait_alu 0xfffe
	v_mul_f64_e32 v[121:122], s[24:25], v[54:55]
	v_mul_f64_e32 v[119:120], s[14:15], v[60:61]
	;; [unrolled: 1-line block ×22, first 2 shown]
	v_add_f64_e32 v[26:27], v[26:27], v[36:37]
	v_add_f64_e32 v[14:15], v[14:15], v[44:45]
	v_mul_f64_e32 v[36:37], s[16:17], v[54:55]
	v_mul_f64_e32 v[44:45], s[14:15], v[56:57]
	s_mov_b32 s15, 0xbfed1bb4
	v_mul_f64_e32 v[131:132], s[24:25], v[48:49]
	s_wait_alu 0xfffe
	v_mul_f64_e32 v[54:55], s[14:15], v[54:55]
	v_mul_f64_e32 v[64:65], s[14:15], v[64:65]
	;; [unrolled: 1-line block ×3, first 2 shown]
	v_fma_f64 v[161:162], v[70:71], s[4:5], v[88:89]
	v_fma_f64 v[167:168], v[40:41], s[4:5], -v[103:104]
	v_fma_f64 v[88:89], v[70:71], s[4:5], -v[88:89]
	v_fma_f64 v[103:104], v[40:41], s[4:5], v[103:104]
	v_fma_f64 v[181:182], v[40:41], s[8:9], -v[127:128]
	v_fma_f64 v[127:128], v[40:41], s[8:9], v[127:128]
	v_fma_f64 v[171:172], v[70:71], s[12:13], v[117:118]
	v_fma_f64 v[173:174], v[70:71], s[10:11], v[121:122]
	v_fma_f64 v[121:122], v[70:71], s[10:11], -v[121:122]
	v_fma_f64 v[185:186], v[40:41], s[12:13], -v[137:138]
	v_fma_f64 v[137:138], v[40:41], s[12:13], v[137:138]
	v_fma_f64 v[187:188], v[40:41], s[10:11], -v[147:148]
	v_fma_f64 v[117:118], v[70:71], s[12:13], -v[117:118]
	;; [unrolled: 1-line block ×3, first 2 shown]
	v_fma_f64 v[101:102], v[12:13], s[10:11], v[101:102]
	v_fma_f64 v[177:178], v[24:25], s[12:13], v[111:112]
	v_fma_f64 v[183:184], v[12:13], s[12:13], -v[125:126]
	v_fma_f64 v[111:112], v[24:25], s[12:13], -v[111:112]
	v_fma_f64 v[125:126], v[12:13], s[12:13], v[125:126]
	v_fma_f64 v[193:194], v[24:25], s[8:9], v[141:142]
	v_fma_f64 v[141:142], v[24:25], s[8:9], -v[141:142]
	v_fma_f64 v[195:196], v[12:13], s[8:9], v[145:146]
	v_fma_f64 v[145:146], v[12:13], s[8:9], -v[145:146]
	v_mul_f64_e32 v[151:152], s[24:25], v[58:59]
	v_mul_f64_e32 v[155:156], s[22:23], v[48:49]
	;; [unrolled: 1-line block ×5, first 2 shown]
	v_fma_f64 v[163:164], v[78:79], s[8:9], -v[99:100]
	v_add_f64_e32 v[26:27], v[32:33], v[26:27]
	v_add_f64_e32 v[14:15], v[20:21], v[14:15]
	v_mul_f64_e32 v[20:21], s[14:15], v[62:63]
	v_fma_f64 v[169:170], v[70:71], s[8:9], v[36:37]
	v_fma_f64 v[36:37], v[70:71], s[8:9], -v[36:37]
	v_fma_f64 v[62:63], v[24:25], s[10:11], v[86:87]
	v_fma_f64 v[189:190], v[70:71], s[0:1], -v[54:55]
	v_fma_f64 v[191:192], v[40:41], s[0:1], v[64:65]
	v_fma_f64 v[54:55], v[70:71], s[0:1], v[54:55]
	v_fma_f64 v[64:65], v[40:41], s[0:1], -v[64:65]
	v_fma_f64 v[86:87], v[24:25], s[10:11], -v[86:87]
	v_fma_f64 v[197:198], v[24:25], s[0:1], v[52:53]
	v_add_f64_e32 v[88:89], v[8:9], v[88:89]
	v_add_f64_e32 v[103:104], v[4:5], v[103:104]
	v_add_f64_e32 v[127:128], v[4:5], v[127:128]
	v_fma_f64 v[32:33], v[72:73], s[8:9], v[84:85]
	v_add_f64_e32 v[173:174], v[8:9], v[173:174]
	v_add_f64_e32 v[121:122], v[8:9], v[121:122]
	v_fma_f64 v[84:85], v[72:73], s[8:9], -v[84:85]
	v_add_f64_e32 v[137:138], v[4:5], v[137:138]
	v_fma_f64 v[175:176], v[72:73], s[10:11], v[109:110]
	v_add_f64_e32 v[117:118], v[8:9], v[117:118]
	v_fma_f64 v[179:180], v[78:79], s[10:11], -v[123:124]
	v_fma_f64 v[109:110], v[72:73], s[10:11], -v[109:110]
	v_fma_f64 v[123:124], v[78:79], s[10:11], v[123:124]
	v_fma_f64 v[99:100], v[78:79], s[8:9], v[99:100]
	v_fma_f64 v[70:71], v[78:79], s[0:1], -v[119:120]
	v_fma_f64 v[119:120], v[78:79], s[0:1], v[119:120]
	v_mul_f64_e32 v[129:130], s[16:17], v[46:47]
	v_mul_f64_e32 v[149:150], s[16:17], v[56:57]
	;; [unrolled: 1-line block ×4, first 2 shown]
	v_add_f64_e32 v[26:27], v[34:35], v[26:27]
	v_add_f64_e32 v[14:15], v[38:39], v[14:15]
	v_fma_f64 v[34:35], v[40:41], s[10:11], v[147:148]
	v_fma_f64 v[40:41], v[24:25], s[4:5], v[133:134]
	v_fma_f64 v[147:148], v[12:13], s[4:5], -v[135:136]
	v_fma_f64 v[133:134], v[24:25], s[4:5], -v[133:134]
	v_fma_f64 v[135:136], v[12:13], s[4:5], v[135:136]
	v_fma_f64 v[199:200], v[12:13], s[0:1], -v[20:21]
	v_fma_f64 v[24:25], v[24:25], s[0:1], -v[52:53]
	v_fma_f64 v[12:13], v[12:13], s[0:1], v[20:21]
	v_add_f64_e32 v[20:21], v[8:9], v[161:162]
	v_add_f64_e32 v[52:53], v[4:5], v[167:168]
	;; [unrolled: 1-line block ×12, first 2 shown]
	v_fma_f64 v[64:65], v[78:79], s[4:5], v[143:144]
	v_fma_f64 v[38:39], v[72:73], s[0:1], v[115:116]
	v_fma_f64 v[115:116], v[72:73], s[0:1], -v[115:116]
	v_fma_f64 v[191:192], v[76:77], s[0:1], -v[97:98]
	v_fma_f64 v[97:98], v[76:77], s[0:1], v[97:98]
	v_fma_f64 v[189:190], v[74:75], s[12:13], -v[90:91]
	v_fma_f64 v[90:91], v[74:75], s[12:13], v[90:91]
	v_add_f64_e32 v[26:27], v[28:29], v[26:27]
	v_add_f64_e32 v[14:15], v[22:23], v[14:15]
	v_add_f64_e32 v[4:5], v[4:5], v[34:35]
	v_fma_f64 v[22:23], v[72:73], s[4:5], v[139:140]
	v_fma_f64 v[34:35], v[72:73], s[4:5], -v[139:140]
	v_fma_f64 v[139:140], v[72:73], s[12:13], v[50:51]
	v_fma_f64 v[50:51], v[72:73], s[12:13], -v[50:51]
	v_add_f64_e32 v[117:118], v[133:134], v[117:118]
	v_add_f64_e32 v[24:25], v[24:25], v[121:122]
	v_fma_f64 v[28:29], v[78:79], s[4:5], -v[143:144]
	v_add_f64_e32 v[20:21], v[62:63], v[20:21]
	v_add_f64_e32 v[52:53], v[165:166], v[52:53]
	;; [unrolled: 1-line block ×15, first 2 shown]
	v_fma_f64 v[72:73], v[78:79], s[12:13], -v[60:61]
	v_fma_f64 v[60:61], v[78:79], s[12:13], v[60:61]
	v_add_f64_e32 v[127:128], v[197:198], v[173:174]
	v_add_f64_e32 v[133:134], v[199:200], v[181:182]
	v_fma_f64 v[143:144], v[68:69], s[0:1], v[82:83]
	v_fma_f64 v[82:83], v[68:69], s[0:1], -v[82:83]
	v_fma_f64 v[137:138], v[76:77], s[10:11], -v[151:152]
	v_fma_f64 v[141:142], v[76:77], s[10:11], v[151:152]
	v_fma_f64 v[145:146], v[68:69], s[12:13], v[155:156]
	v_fma_f64 v[147:148], v[76:77], s[12:13], -v[159:160]
	v_fma_f64 v[151:152], v[68:69], s[12:13], -v[155:156]
	v_fma_f64 v[155:156], v[76:77], s[12:13], v[159:160]
	v_fma_f64 v[159:160], v[68:69], s[8:9], v[48:49]
	v_add_f64_e32 v[18:19], v[18:19], v[26:27]
	v_add_f64_e32 v[14:15], v[16:17], v[14:15]
	;; [unrolled: 1-line block ×3, first 2 shown]
	v_fma_f64 v[12:13], v[68:69], s[4:5], v[107:108]
	v_fma_f64 v[16:17], v[76:77], s[4:5], -v[113:114]
	v_fma_f64 v[26:27], v[68:69], s[4:5], -v[107:108]
	v_fma_f64 v[107:108], v[76:77], s[4:5], v[113:114]
	v_fma_f64 v[113:114], v[68:69], s[10:11], v[131:132]
	v_fma_f64 v[131:132], v[68:69], s[10:11], -v[131:132]
	v_fma_f64 v[161:162], v[76:77], s[8:9], -v[58:59]
	;; [unrolled: 1-line block ×3, first 2 shown]
	v_fma_f64 v[58:59], v[76:77], s[8:9], v[58:59]
	v_add_f64_e32 v[20:21], v[32:33], v[20:21]
	v_add_f64_e32 v[32:33], v[163:164], v[52:53]
	;; [unrolled: 1-line block ×19, first 2 shown]
	v_fma_f64 v[28:29], v[66:67], s[0:1], -v[105:106]
	v_fma_f64 v[78:79], v[66:67], s[12:13], v[80:81]
	v_fma_f64 v[80:81], v[66:67], s[12:13], -v[80:81]
	v_fma_f64 v[109:110], v[74:75], s[10:11], v[157:158]
	v_fma_f64 v[54:55], v[66:67], s[8:9], v[129:130]
	v_fma_f64 v[64:65], v[66:67], s[8:9], -v[129:130]
	v_fma_f64 v[99:100], v[74:75], s[8:9], v[149:150]
	v_add_f64_e32 v[10:11], v[10:11], v[18:19]
	v_add_f64_e32 v[6:7], v[6:7], v[14:15]
	;; [unrolled: 1-line block ×3, first 2 shown]
	v_fma_f64 v[14:15], v[66:67], s[0:1], v[105:106]
	v_fma_f64 v[18:19], v[74:75], s[0:1], -v[44:45]
	v_fma_f64 v[44:45], v[74:75], s[0:1], v[44:45]
	v_fma_f64 v[105:106], v[66:67], s[10:11], -v[153:154]
	v_fma_f64 v[101:102], v[66:67], s[10:11], v[153:154]
	v_fma_f64 v[111:112], v[66:67], s[4:5], v[46:47]
	v_fma_f64 v[46:47], v[66:67], s[4:5], -v[46:47]
	v_fma_f64 v[60:61], v[74:75], s[8:9], -v[149:150]
	;; [unrolled: 1-line block ×3, first 2 shown]
	v_add_f64_e32 v[20:21], v[143:144], v[20:21]
	v_add_f64_e32 v[32:33], v[191:192], v[32:33]
	;; [unrolled: 1-line block ×8, first 2 shown]
	v_mov_b32_e32 v97, 0
	v_add_f64_e32 v[34:35], v[151:152], v[34:35]
	v_add_f64_e32 v[50:51], v[155:156], v[50:51]
	v_add_f64_e32 v[38:39], v[113:114], v[38:39]
	v_add_f64_e32 v[40:41], v[137:138], v[40:41]
	v_add_f64_e32 v[66:67], v[131:132], v[70:71]
	v_add_f64_e32 v[68:69], v[141:142], v[86:87]
	v_fma_f64 v[115:116], v[74:75], s[4:5], -v[56:57]
	v_fma_f64 v[56:57], v[74:75], s[4:5], v[56:57]
	v_add_f64_e32 v[74:75], v[145:146], v[8:9]
	v_add_f64_e32 v[76:77], v[147:148], v[22:23]
	;; [unrolled: 1-line block ×5, first 2 shown]
	v_mul_lo_u32 v86, s3, v94
	v_mul_lo_u32 v87, s2, v95
	v_mad_co_u64_u32 v[84:85], null, s2, v94, 0
	v_add_f64_e32 v[30:31], v[30:31], v[10:11]
	v_add_f64_e32 v[82:83], v[2:3], v[6:7]
	;; [unrolled: 1-line block ×3, first 2 shown]
	s_delay_alu instid0(VALU_DEP_4)
	v_add3_u32 v85, v85, v87, v86
	v_add_f64_e32 v[4:5], v[78:79], v[20:21]
	v_add_f64_e32 v[2:3], v[189:190], v[32:33]
	;; [unrolled: 1-line block ×19, first 2 shown]
	v_lshlrev_b64_e32 v[46:47], 4, v[92:93]
	v_add_f64_e32 v[44:45], v[42:43], v[30:31]
	v_add_f64_e32 v[42:43], v[0:1], v[82:83]
	;; [unrolled: 1-line block ×3, first 2 shown]
	v_lshlrev_b64_e32 v[0:1], 4, v[84:85]
	s_delay_alu instid0(VALU_DEP_1) | instskip(SKIP_1) | instid1(VALU_DEP_2)
	v_add_co_u32 v48, vcc_lo, s6, v0
	s_wait_alu 0xfffd
	v_add_co_ci_u32_e32 v49, vcc_lo, s7, v1, vcc_lo
	v_lshlrev_b64_e32 v[0:1], 4, v[96:97]
	s_delay_alu instid0(VALU_DEP_3) | instskip(SKIP_1) | instid1(VALU_DEP_3)
	v_add_co_u32 v46, vcc_lo, v48, v46
	s_wait_alu 0xfffd
	v_add_co_ci_u32_e32 v47, vcc_lo, v49, v47, vcc_lo
	s_delay_alu instid0(VALU_DEP_2) | instskip(SKIP_1) | instid1(VALU_DEP_2)
	v_add_co_u32 v0, vcc_lo, v46, v0
	s_wait_alu 0xfffd
	v_add_co_ci_u32_e32 v1, vcc_lo, v47, v1, vcc_lo
	s_clause 0xa
	global_store_b128 v[0:1], v[14:17], off offset:8704
	global_store_b128 v[0:1], v[6:9], off offset:10880
	global_store_b128 v[0:1], v[2:5], off offset:13056
	global_store_b128 v[0:1], v[10:13], off offset:15232
	global_store_b128 v[0:1], v[34:37], off offset:4352
	global_store_b128 v[0:1], v[22:25], off offset:6528
	global_store_b128 v[0:1], v[18:21], off offset:17408
	global_store_b128 v[0:1], v[38:41], off offset:19584
	global_store_b128 v[0:1], v[42:45], off
	global_store_b128 v[0:1], v[30:33], off offset:2176
	global_store_b128 v[0:1], v[26:29], off offset:21760
	s_nop 0
	s_sendmsg sendmsg(MSG_DEALLOC_VGPRS)
	s_endpgm
	.section	.rodata,"a",@progbits
	.p2align	6, 0x0
	.amdhsa_kernel fft_rtc_back_len1496_factors_17_8_11_wgs_187_tpt_187_halfLds_dp_op_CI_CI_unitstride_sbrr_dirReg
		.amdhsa_group_segment_fixed_size 0
		.amdhsa_private_segment_fixed_size 0
		.amdhsa_kernarg_size 104
		.amdhsa_user_sgpr_count 2
		.amdhsa_user_sgpr_dispatch_ptr 0
		.amdhsa_user_sgpr_queue_ptr 0
		.amdhsa_user_sgpr_kernarg_segment_ptr 1
		.amdhsa_user_sgpr_dispatch_id 0
		.amdhsa_user_sgpr_private_segment_size 0
		.amdhsa_wavefront_size32 1
		.amdhsa_uses_dynamic_stack 0
		.amdhsa_enable_private_segment 0
		.amdhsa_system_sgpr_workgroup_id_x 1
		.amdhsa_system_sgpr_workgroup_id_y 0
		.amdhsa_system_sgpr_workgroup_id_z 0
		.amdhsa_system_sgpr_workgroup_info 0
		.amdhsa_system_vgpr_workitem_id 0
		.amdhsa_next_free_vgpr 201
		.amdhsa_next_free_sgpr 60
		.amdhsa_reserve_vcc 1
		.amdhsa_float_round_mode_32 0
		.amdhsa_float_round_mode_16_64 0
		.amdhsa_float_denorm_mode_32 3
		.amdhsa_float_denorm_mode_16_64 3
		.amdhsa_fp16_overflow 0
		.amdhsa_workgroup_processor_mode 1
		.amdhsa_memory_ordered 1
		.amdhsa_forward_progress 0
		.amdhsa_round_robin_scheduling 0
		.amdhsa_exception_fp_ieee_invalid_op 0
		.amdhsa_exception_fp_denorm_src 0
		.amdhsa_exception_fp_ieee_div_zero 0
		.amdhsa_exception_fp_ieee_overflow 0
		.amdhsa_exception_fp_ieee_underflow 0
		.amdhsa_exception_fp_ieee_inexact 0
		.amdhsa_exception_int_div_zero 0
	.end_amdhsa_kernel
	.text
.Lfunc_end0:
	.size	fft_rtc_back_len1496_factors_17_8_11_wgs_187_tpt_187_halfLds_dp_op_CI_CI_unitstride_sbrr_dirReg, .Lfunc_end0-fft_rtc_back_len1496_factors_17_8_11_wgs_187_tpt_187_halfLds_dp_op_CI_CI_unitstride_sbrr_dirReg
                                        ; -- End function
	.section	.AMDGPU.csdata,"",@progbits
; Kernel info:
; codeLenInByte = 10572
; NumSgprs: 62
; NumVgprs: 201
; ScratchSize: 0
; MemoryBound: 1
; FloatMode: 240
; IeeeMode: 1
; LDSByteSize: 0 bytes/workgroup (compile time only)
; SGPRBlocks: 7
; VGPRBlocks: 25
; NumSGPRsForWavesPerEU: 62
; NumVGPRsForWavesPerEU: 201
; Occupancy: 7
; WaveLimiterHint : 1
; COMPUTE_PGM_RSRC2:SCRATCH_EN: 0
; COMPUTE_PGM_RSRC2:USER_SGPR: 2
; COMPUTE_PGM_RSRC2:TRAP_HANDLER: 0
; COMPUTE_PGM_RSRC2:TGID_X_EN: 1
; COMPUTE_PGM_RSRC2:TGID_Y_EN: 0
; COMPUTE_PGM_RSRC2:TGID_Z_EN: 0
; COMPUTE_PGM_RSRC2:TIDIG_COMP_CNT: 0
	.text
	.p2alignl 7, 3214868480
	.fill 96, 4, 3214868480
	.type	__hip_cuid_a99a60c65ffa0fa2,@object ; @__hip_cuid_a99a60c65ffa0fa2
	.section	.bss,"aw",@nobits
	.globl	__hip_cuid_a99a60c65ffa0fa2
__hip_cuid_a99a60c65ffa0fa2:
	.byte	0                               ; 0x0
	.size	__hip_cuid_a99a60c65ffa0fa2, 1

	.ident	"AMD clang version 19.0.0git (https://github.com/RadeonOpenCompute/llvm-project roc-6.4.0 25133 c7fe45cf4b819c5991fe208aaa96edf142730f1d)"
	.section	".note.GNU-stack","",@progbits
	.addrsig
	.addrsig_sym __hip_cuid_a99a60c65ffa0fa2
	.amdgpu_metadata
---
amdhsa.kernels:
  - .args:
      - .actual_access:  read_only
        .address_space:  global
        .offset:         0
        .size:           8
        .value_kind:     global_buffer
      - .offset:         8
        .size:           8
        .value_kind:     by_value
      - .actual_access:  read_only
        .address_space:  global
        .offset:         16
        .size:           8
        .value_kind:     global_buffer
      - .actual_access:  read_only
        .address_space:  global
        .offset:         24
        .size:           8
        .value_kind:     global_buffer
      - .actual_access:  read_only
        .address_space:  global
        .offset:         32
        .size:           8
        .value_kind:     global_buffer
      - .offset:         40
        .size:           8
        .value_kind:     by_value
      - .actual_access:  read_only
        .address_space:  global
        .offset:         48
        .size:           8
        .value_kind:     global_buffer
      - .actual_access:  read_only
        .address_space:  global
        .offset:         56
        .size:           8
        .value_kind:     global_buffer
      - .offset:         64
        .size:           4
        .value_kind:     by_value
      - .actual_access:  read_only
        .address_space:  global
        .offset:         72
        .size:           8
        .value_kind:     global_buffer
      - .actual_access:  read_only
        .address_space:  global
        .offset:         80
        .size:           8
        .value_kind:     global_buffer
      - .actual_access:  read_only
        .address_space:  global
        .offset:         88
        .size:           8
        .value_kind:     global_buffer
      - .actual_access:  write_only
        .address_space:  global
        .offset:         96
        .size:           8
        .value_kind:     global_buffer
    .group_segment_fixed_size: 0
    .kernarg_segment_align: 8
    .kernarg_segment_size: 104
    .language:       OpenCL C
    .language_version:
      - 2
      - 0
    .max_flat_workgroup_size: 187
    .name:           fft_rtc_back_len1496_factors_17_8_11_wgs_187_tpt_187_halfLds_dp_op_CI_CI_unitstride_sbrr_dirReg
    .private_segment_fixed_size: 0
    .sgpr_count:     62
    .sgpr_spill_count: 0
    .symbol:         fft_rtc_back_len1496_factors_17_8_11_wgs_187_tpt_187_halfLds_dp_op_CI_CI_unitstride_sbrr_dirReg.kd
    .uniform_work_group_size: 1
    .uses_dynamic_stack: false
    .vgpr_count:     201
    .vgpr_spill_count: 0
    .wavefront_size: 32
    .workgroup_processor_mode: 1
amdhsa.target:   amdgcn-amd-amdhsa--gfx1201
amdhsa.version:
  - 1
  - 2
...

	.end_amdgpu_metadata
